;; amdgpu-corpus repo=ROCm/rocFFT kind=compiled arch=gfx906 opt=O3
	.text
	.amdgcn_target "amdgcn-amd-amdhsa--gfx906"
	.amdhsa_code_object_version 6
	.protected	bluestein_single_back_len1560_dim1_half_op_CI_CI ; -- Begin function bluestein_single_back_len1560_dim1_half_op_CI_CI
	.globl	bluestein_single_back_len1560_dim1_half_op_CI_CI
	.p2align	8
	.type	bluestein_single_back_len1560_dim1_half_op_CI_CI,@function
bluestein_single_back_len1560_dim1_half_op_CI_CI: ; @bluestein_single_back_len1560_dim1_half_op_CI_CI
; %bb.0:
	s_load_dwordx4 s[0:3], s[4:5], 0x28
	v_mul_u32_u24_e32 v1, 0x1a5, v0
	v_add_u32_sdwa v8, s6, v1 dst_sel:DWORD dst_unused:UNUSED_PAD src0_sel:DWORD src1_sel:WORD_1
	v_mov_b32_e32 v9, 0
	s_waitcnt lgkmcnt(0)
	v_cmp_gt_u64_e32 vcc, s[0:1], v[8:9]
	s_and_saveexec_b64 s[0:1], vcc
	s_cbranch_execz .LBB0_23
; %bb.1:
	s_load_dwordx2 s[12:13], s[4:5], 0x0
	s_load_dwordx2 s[14:15], s[4:5], 0x38
	s_movk_i32 s0, 0x9c
	v_mul_lo_u16_sdwa v1, v1, s0 dst_sel:DWORD dst_unused:UNUSED_PAD src0_sel:WORD_1 src1_sel:DWORD
	v_sub_u16_e32 v30, v0, v1
	s_movk_i32 s0, 0x78
	v_cmp_gt_u16_e64 s[0:1], s0, v30
	v_lshlrev_b32_e32 v29, 2, v30
	s_and_saveexec_b64 s[6:7], s[0:1]
	s_cbranch_execz .LBB0_3
; %bb.2:
	s_load_dwordx2 s[8:9], s[4:5], 0x18
	s_waitcnt lgkmcnt(0)
	s_load_dwordx4 s[8:11], s[8:9], 0x0
	s_waitcnt lgkmcnt(0)
	v_mad_u64_u32 v[0:1], s[16:17], s10, v8, 0
	v_mad_u64_u32 v[2:3], s[16:17], s8, v30, 0
	;; [unrolled: 1-line block ×4, first 2 shown]
	v_mov_b32_e32 v1, v4
	v_lshlrev_b64 v[0:1], 2, v[0:1]
	v_mov_b32_e32 v3, v5
	v_mov_b32_e32 v6, s3
	v_lshlrev_b64 v[2:3], 2, v[2:3]
	v_add_co_u32_e32 v0, vcc, s2, v0
	v_addc_co_u32_e32 v1, vcc, v6, v1, vcc
	v_add_co_u32_e32 v0, vcc, v0, v2
	v_addc_co_u32_e32 v1, vcc, v1, v3, vcc
	global_load_dword v4, v[0:1], off
	global_load_dword v5, v29, s[12:13]
	v_mov_b32_e32 v2, s13
	v_add_co_u32_e32 v3, vcc, s12, v29
	s_mul_i32 s3, s9, 0x1e0
	s_mul_hi_u32 s9, s8, 0x1e0
	v_addc_co_u32_e32 v15, vcc, 0, v2, vcc
	s_mulk_i32 s8, 0x1e0
	s_add_i32 s3, s9, s3
	v_mov_b32_e32 v2, s3
	v_add_co_u32_e32 v0, vcc, s8, v0
	v_addc_co_u32_e32 v1, vcc, v1, v2, vcc
	global_load_dword v6, v29, s[12:13] offset:480
	global_load_dword v7, v29, s[12:13] offset:960
	;; [unrolled: 1-line block ×7, first 2 shown]
	global_load_dword v16, v[0:1], off
	v_add_co_u32_e32 v0, vcc, s8, v0
	v_addc_co_u32_e32 v1, vcc, v1, v2, vcc
	global_load_dword v19, v[0:1], off
	v_mov_b32_e32 v17, s3
	v_add_co_u32_e32 v0, vcc, s8, v0
	v_addc_co_u32_e32 v1, vcc, v1, v17, vcc
	global_load_dword v17, v[0:1], off
	v_mov_b32_e32 v18, s3
	v_add_co_u32_e32 v0, vcc, s8, v0
	v_addc_co_u32_e32 v1, vcc, v1, v18, vcc
	global_load_dword v18, v[0:1], off
	v_add_co_u32_e32 v0, vcc, s8, v0
	v_addc_co_u32_e32 v1, vcc, v1, v2, vcc
	global_load_dword v24, v[0:1], off
	v_mov_b32_e32 v20, s3
	v_add_co_u32_e32 v0, vcc, s8, v0
	v_addc_co_u32_e32 v1, vcc, v1, v20, vcc
	global_load_dword v20, v[0:1], off
	v_mov_b32_e32 v21, s3
	;; [unrolled: 4-line block ×3, first 2 shown]
	v_add_co_u32_e32 v0, vcc, s8, v0
	v_addc_co_u32_e32 v1, vcc, v1, v22, vcc
	v_mov_b32_e32 v23, s3
	global_load_dword v22, v[0:1], off
	v_add_co_u32_e32 v0, vcc, s8, v0
	s_movk_i32 s2, 0x1000
	global_load_dword v14, v29, s[12:13] offset:3840
	v_addc_co_u32_e32 v1, vcc, v1, v23, vcc
	global_load_dword v23, v[0:1], off
	v_mov_b32_e32 v27, s3
	v_mov_b32_e32 v28, s3
	s_waitcnt vmcnt(18)
	v_lshrrev_b32_e32 v2, 16, v4
	s_waitcnt vmcnt(17)
	v_mul_f16_sdwa v25, v5, v4 dst_sel:DWORD dst_unused:UNUSED_PAD src0_sel:WORD_1 src1_sel:DWORD
	v_fma_f16 v25, v5, v2, -v25
	v_mul_f16_sdwa v26, v5, v2 dst_sel:DWORD dst_unused:UNUSED_PAD src0_sel:WORD_1 src1_sel:DWORD
	v_add_co_u32_e32 v2, vcc, s2, v3
	v_addc_co_u32_e32 v3, vcc, 0, v15, vcc
	global_load_dword v15, v[2:3], off offset:224
	global_load_dword v31, v[2:3], off offset:704
	v_add_co_u32_e32 v0, vcc, s8, v0
	v_addc_co_u32_e32 v1, vcc, v1, v27, vcc
	global_load_dword v27, v[0:1], off
	v_add_co_u32_e32 v0, vcc, s8, v0
	v_addc_co_u32_e32 v1, vcc, v1, v28, vcc
	global_load_dword v28, v[0:1], off
	global_load_dword v32, v[2:3], off offset:1184
	v_fma_f16 v4, v5, v4, v26
	v_mov_b32_e32 v5, s3
	v_add_co_u32_e32 v0, vcc, s8, v0
	v_addc_co_u32_e32 v1, vcc, v1, v5, vcc
	global_load_dword v5, v[0:1], off
	global_load_dword v26, v[2:3], off offset:1664
	s_waitcnt vmcnt(16)
	v_lshrrev_b32_e32 v0, 16, v16
	v_mul_f16_sdwa v1, v6, v16 dst_sel:DWORD dst_unused:UNUSED_PAD src0_sel:WORD_1 src1_sel:DWORD
	v_fma_f16 v1, v6, v0, -v1
	v_mul_f16_sdwa v0, v6, v0 dst_sel:DWORD dst_unused:UNUSED_PAD src0_sel:WORD_1 src1_sel:DWORD
	v_fma_f16 v0, v6, v16, v0
	v_pack_b32_f16 v2, v4, v25
	v_pack_b32_f16 v0, v0, v1
	ds_write2_b32 v29, v2, v0 offset1:120
	s_waitcnt vmcnt(15)
	v_lshrrev_b32_e32 v0, 16, v19
	v_mul_f16_sdwa v1, v7, v0 dst_sel:DWORD dst_unused:UNUSED_PAD src0_sel:WORD_1 src1_sel:DWORD
	v_mul_f16_sdwa v2, v7, v19 dst_sel:DWORD dst_unused:UNUSED_PAD src0_sel:WORD_1 src1_sel:DWORD
	v_fma_f16 v1, v7, v19, v1
	v_fma_f16 v0, v7, v0, -v2
	v_pack_b32_f16 v0, v1, v0
	s_waitcnt vmcnt(14)
	v_lshrrev_b32_e32 v1, 16, v17
	v_mul_f16_sdwa v2, v9, v1 dst_sel:DWORD dst_unused:UNUSED_PAD src0_sel:WORD_1 src1_sel:DWORD
	v_mul_f16_sdwa v3, v9, v17 dst_sel:DWORD dst_unused:UNUSED_PAD src0_sel:WORD_1 src1_sel:DWORD
	v_fma_f16 v2, v9, v17, v2
	v_fma_f16 v1, v9, v1, -v3
	v_pack_b32_f16 v1, v2, v1
	v_add_u32_e32 v2, 0x200, v29
	ds_write2_b32 v2, v0, v1 offset0:112 offset1:232
	s_waitcnt vmcnt(13)
	v_lshrrev_b32_e32 v0, 16, v18
	v_mul_f16_sdwa v1, v10, v0 dst_sel:DWORD dst_unused:UNUSED_PAD src0_sel:WORD_1 src1_sel:DWORD
	v_mul_f16_sdwa v2, v10, v18 dst_sel:DWORD dst_unused:UNUSED_PAD src0_sel:WORD_1 src1_sel:DWORD
	v_fma_f16 v1, v10, v18, v1
	v_fma_f16 v0, v10, v0, -v2
	v_pack_b32_f16 v0, v1, v0
	s_waitcnt vmcnt(12)
	v_lshrrev_b32_e32 v1, 16, v24
	v_mul_f16_sdwa v2, v11, v1 dst_sel:DWORD dst_unused:UNUSED_PAD src0_sel:WORD_1 src1_sel:DWORD
	v_mul_f16_sdwa v3, v11, v24 dst_sel:DWORD dst_unused:UNUSED_PAD src0_sel:WORD_1 src1_sel:DWORD
	v_fma_f16 v2, v11, v24, v2
	v_fma_f16 v1, v11, v1, -v3
	v_pack_b32_f16 v1, v2, v1
	v_add_u32_e32 v2, 0x600, v29
	ds_write2_b32 v2, v0, v1 offset0:96 offset1:216
	;; [unrolled: 16-line block ×3, first 2 shown]
	s_waitcnt vmcnt(9)
	v_lshrrev_b32_e32 v0, 16, v22
	s_waitcnt vmcnt(8)
	v_mul_f16_sdwa v1, v14, v0 dst_sel:DWORD dst_unused:UNUSED_PAD src0_sel:WORD_1 src1_sel:DWORD
	v_mul_f16_sdwa v2, v14, v22 dst_sel:DWORD dst_unused:UNUSED_PAD src0_sel:WORD_1 src1_sel:DWORD
	v_fma_f16 v1, v14, v22, v1
	v_fma_f16 v0, v14, v0, -v2
	v_pack_b32_f16 v0, v1, v0
	s_waitcnt vmcnt(7)
	v_lshrrev_b32_e32 v1, 16, v23
	s_waitcnt vmcnt(6)
	v_mul_f16_sdwa v2, v15, v1 dst_sel:DWORD dst_unused:UNUSED_PAD src0_sel:WORD_1 src1_sel:DWORD
	v_mul_f16_sdwa v3, v15, v23 dst_sel:DWORD dst_unused:UNUSED_PAD src0_sel:WORD_1 src1_sel:DWORD
	v_fma_f16 v2, v15, v23, v2
	v_fma_f16 v1, v15, v1, -v3
	v_pack_b32_f16 v1, v2, v1
	v_add_u32_e32 v2, 0xe00, v29
	ds_write2_b32 v2, v0, v1 offset0:64 offset1:184
	s_waitcnt vmcnt(4)
	v_lshrrev_b32_e32 v0, 16, v27
	v_mul_f16_sdwa v1, v31, v0 dst_sel:DWORD dst_unused:UNUSED_PAD src0_sel:WORD_1 src1_sel:DWORD
	v_mul_f16_sdwa v2, v31, v27 dst_sel:DWORD dst_unused:UNUSED_PAD src0_sel:WORD_1 src1_sel:DWORD
	v_fma_f16 v1, v31, v27, v1
	v_fma_f16 v0, v31, v0, -v2
	v_pack_b32_f16 v0, v1, v0
	s_waitcnt vmcnt(3)
	v_lshrrev_b32_e32 v1, 16, v28
	s_waitcnt vmcnt(2)
	v_mul_f16_sdwa v2, v32, v1 dst_sel:DWORD dst_unused:UNUSED_PAD src0_sel:WORD_1 src1_sel:DWORD
	v_mul_f16_sdwa v3, v32, v28 dst_sel:DWORD dst_unused:UNUSED_PAD src0_sel:WORD_1 src1_sel:DWORD
	v_fma_f16 v2, v32, v28, v2
	v_fma_f16 v1, v32, v1, -v3
	v_pack_b32_f16 v1, v2, v1
	v_add_u32_e32 v2, 0x1200, v29
	ds_write2_b32 v2, v0, v1 offset0:48 offset1:168
	s_waitcnt vmcnt(1)
	v_lshrrev_b32_e32 v0, 16, v5
	s_waitcnt vmcnt(0)
	v_mul_f16_sdwa v1, v26, v0 dst_sel:DWORD dst_unused:UNUSED_PAD src0_sel:WORD_1 src1_sel:DWORD
	v_mul_f16_sdwa v2, v26, v5 dst_sel:DWORD dst_unused:UNUSED_PAD src0_sel:WORD_1 src1_sel:DWORD
	v_fma_f16 v1, v26, v5, v1
	v_fma_f16 v0, v26, v0, -v2
	v_pack_b32_f16 v0, v1, v0
	ds_write_b32 v29, v0 offset:5760
.LBB0_3:
	s_or_b64 exec, exec, s[6:7]
	s_load_dwordx2 s[2:3], s[4:5], 0x20
	s_load_dwordx2 s[16:17], s[4:5], 0x8
	v_mov_b32_e32 v0, 0
	s_waitcnt lgkmcnt(0)
	s_barrier
	s_waitcnt lgkmcnt(0)
                                        ; implicit-def: $vgpr13
                                        ; implicit-def: $vgpr12
                                        ; implicit-def: $vgpr10
                                        ; implicit-def: $vgpr7
                                        ; implicit-def: $vgpr5
                                        ; implicit-def: $vgpr3
	s_and_saveexec_b64 s[4:5], s[0:1]
	s_cbranch_execz .LBB0_5
; %bb.4:
	v_add_u32_e32 v2, 0x200, v29
	v_add_u32_e32 v4, 0x600, v29
	;; [unrolled: 1-line block ×5, first 2 shown]
	ds_read2_b32 v[0:1], v29 offset1:120
	ds_read2_b32 v[2:3], v2 offset0:112 offset1:232
	ds_read2_b32 v[4:5], v4 offset0:96 offset1:216
	;; [unrolled: 1-line block ×5, first 2 shown]
	ds_read_b32 v13, v29 offset:5760
.LBB0_5:
	s_or_b64 exec, exec, s[4:5]
	s_waitcnt lgkmcnt(0)
	v_pk_add_f16 v14, v1, v13 neg_lo:[0,1] neg_hi:[0,1]
	s_mov_b32 s25, 0xb770
	v_pk_add_f16 v15, v13, v1
	s_movk_i32 s6, 0x3b15
	v_mul_f16_sdwa v19, v14, s25 dst_sel:DWORD dst_unused:UNUSED_PAD src0_sel:WORD_1 src1_sel:DWORD
	v_fma_f16 v16, v15, s6, v19
	v_lshrrev_b32_e32 v37, 16, v15
	s_movk_i32 s7, 0x388b
	v_mul_f16_e32 v24, 0xba95, v14
	v_add_f16_e32 v18, v16, v0
	v_fma_f16 v16, v37, s7, -v24
	s_mov_b32 s24, 0xba95
	v_add_f16_sdwa v20, v16, v0 dst_sel:DWORD dst_unused:UNUSED_PAD src0_sel:DWORD src1_sel:WORD_1
	v_pk_add_f16 v16, v2, v12 neg_lo:[0,1] neg_hi:[0,1]
	v_pk_add_f16 v17, v12, v2
	v_mul_f16_sdwa v22, v16, s24 dst_sel:DWORD dst_unused:UNUSED_PAD src0_sel:WORD_1 src1_sel:DWORD
	s_mov_b32 s22, 0xbbf1
	v_fma_f16 v21, v17, s7, v22
	v_lshrrev_b32_e32 v42, 16, v17
	s_mov_b32 s9, 0xb5ac
	v_mul_f16_e32 v35, 0xbb7b, v16
	s_movk_i32 s8, 0x2fb7
	v_mul_f16_sdwa v39, v14, s22 dst_sel:DWORD dst_unused:UNUSED_PAD src0_sel:WORD_1 src1_sel:DWORD
	v_add_f16_e32 v21, v21, v18
	v_fma_f16 v18, v42, s9, -v35
	s_mov_b32 s10, 0xb3a8
	v_add_f16_e32 v23, v18, v20
	v_fma_f16 v18, v15, s8, v39
	s_mov_b32 s11, 0xbbc4
	v_mul_f16_sdwa v44, v16, s10 dst_sel:DWORD dst_unused:UNUSED_PAD src0_sel:WORD_1 src1_sel:DWORD
	v_add_f16_e32 v18, v18, v0
	v_fma_f16 v20, v17, s11, v44
	v_mul_f16_e32 v49, 0xbbf1, v14
	v_add_f16_e32 v25, v20, v18
	v_fma_f16 v18, v37, s8, -v49
	v_mul_f16_e32 v50, 0xb3a8, v16
	v_add_f16_sdwa v18, v18, v0 dst_sel:DWORD dst_unused:UNUSED_PAD src0_sel:DWORD src1_sel:WORD_1
	v_fma_f16 v20, v42, s11, -v50
	v_add_f16_e32 v26, v20, v18
	v_pk_add_f16 v18, v3, v11 neg_lo:[0,1] neg_hi:[0,1]
	v_pk_add_f16 v20, v11, v3
	v_mul_f16_sdwa v31, v18, s22 dst_sel:DWORD dst_unused:UNUSED_PAD src0_sel:WORD_1 src1_sel:DWORD
	v_fma_f16 v27, v20, s8, v31
	v_lshrrev_b32_e32 v46, 16, v20
	v_mul_f16_e32 v43, 0xb3a8, v18
	s_movk_i32 s26, 0x3b7b
	v_add_f16_e32 v27, v27, v21
	v_fma_f16 v21, v46, s11, -v43
	v_mul_f16_sdwa v48, v18, s26 dst_sel:DWORD dst_unused:UNUSED_PAD src0_sel:WORD_1 src1_sel:DWORD
	v_add_f16_e32 v28, v21, v23
	v_fma_f16 v21, v20, s9, v48
	v_mul_f16_e32 v55, 0x3b7b, v18
	v_add_f16_e32 v25, v21, v25
	v_fma_f16 v21, v46, s9, -v55
	v_add_f16_e32 v26, v21, v26
	s_mov_b32 s18, 0xbb7b
	v_pk_add_f16 v21, v4, v10 neg_lo:[0,1] neg_hi:[0,1]
	v_pk_add_f16 v23, v10, v4
	v_mul_f16_sdwa v40, v21, s18 dst_sel:DWORD dst_unused:UNUSED_PAD src0_sel:WORD_1 src1_sel:DWORD
	v_fma_f16 v32, v23, s9, v40
	s_mov_b32 s20, 0xb9fd
	v_lshrrev_b32_e32 v52, 16, v23
	v_mul_f16_e32 v47, 0x394e, v21
	s_movk_i32 s19, 0x3770
	v_add_f16_e32 v27, v32, v27
	v_fma_f16 v32, v52, s20, -v47
	v_mul_f16_sdwa v54, v21, s19 dst_sel:DWORD dst_unused:UNUSED_PAD src0_sel:WORD_1 src1_sel:DWORD
	v_add_f16_e32 v28, v32, v28
	v_fma_f16 v32, v23, s6, v54
	v_mul_f16_e32 v60, 0x3770, v21
	v_add_f16_e32 v32, v32, v25
	v_fma_f16 v25, v52, s6, -v60
	v_add_f16_e32 v26, v25, v26
	s_mov_b32 s21, 0xb94e
	v_pk_add_f16 v25, v5, v9 neg_lo:[0,1] neg_hi:[0,1]
	v_pk_add_f16 v36, v9, v5
	v_mul_f16_sdwa v45, v25, s21 dst_sel:DWORD dst_unused:UNUSED_PAD src0_sel:WORD_1 src1_sel:DWORD
	v_fma_f16 v33, v36, s20, v45
	v_lshrrev_b32_e32 v56, 16, v36
	v_mul_f16_e32 v53, 0x3bf1, v25
	v_add_f16_e32 v27, v33, v27
	v_fma_f16 v33, v56, s8, -v53
	v_mul_f16_sdwa v58, v25, s24 dst_sel:DWORD dst_unused:UNUSED_PAD src0_sel:WORD_1 src1_sel:DWORD
	v_add_f16_e32 v28, v33, v28
	v_fma_f16 v33, v36, s7, v58
	v_mul_f16_e32 v69, 0xba95, v25
	v_pk_add_f16 v38, v6, v7 neg_lo:[0,1] neg_hi:[0,1]
	v_add_f16_e32 v32, v33, v32
	v_fma_f16 v33, v56, s7, -v69
	v_pk_add_f16 v41, v7, v6
	v_mul_f16_sdwa v51, v38, s10 dst_sel:DWORD dst_unused:UNUSED_PAD src0_sel:WORD_1 src1_sel:DWORD
	v_add_f16_e32 v34, v33, v26
	v_fma_f16 v26, v41, s11, v51
	v_lshrrev_b32_e32 v61, 16, v41
	v_mul_f16_e32 v59, 0x3770, v38
	v_add_f16_e32 v33, v26, v27
	v_fma_f16 v26, v61, s6, -v59
	v_mul_f16_sdwa v66, v38, s21 dst_sel:DWORD dst_unused:UNUSED_PAD src0_sel:WORD_1 src1_sel:DWORD
	v_add_f16_e32 v27, v26, v28
	v_fma_f16 v26, v41, s20, v66
	s_mov_b32 s4, 0x3b15388b
	v_add_f16_e32 v26, v26, v32
	s_mov_b32 s5, 0xba95b770
	v_pk_mul_f16 v32, v15, s4
	s_mov_b32 s4, 0x388bb5ac
	v_pk_fma_f16 v62, v14, s5, v32 op_sel:[0,0,1] op_sel_hi:[1,1,0] neg_lo:[1,0,0] neg_hi:[1,0,0]
	v_pk_fma_f16 v63, v14, s5, v32 op_sel:[0,0,1] op_sel_hi:[1,1,0]
	s_mov_b32 s5, 0xbb7bba95
	v_pk_mul_f16 v32, v17, s4
	s_mov_b32 s4, 0x2fb7bbc4
	v_pk_fma_f16 v64, v16, s5, v32 op_sel:[0,0,1] op_sel_hi:[1,1,0] neg_lo:[1,0,0] neg_hi:[1,0,0]
	v_pk_fma_f16 v65, v16, s5, v32 op_sel:[0,0,1] op_sel_hi:[1,1,0]
	;; [unrolled: 5-line block ×4, first 2 shown]
	s_mov_b32 s5, 0x3bf1b94e
	v_pk_mul_f16 v32, v36, s4
	v_pk_fma_f16 v72, v25, s5, v32 op_sel:[0,0,1] op_sel_hi:[1,1,0] neg_lo:[1,0,0] neg_hi:[1,0,0]
	v_pk_fma_f16 v73, v25, s5, v32 op_sel:[0,0,1] op_sel_hi:[1,1,0]
	v_add_f16_sdwa v32, v62, v0 dst_sel:DWORD dst_unused:UNUSED_PAD src0_sel:DWORD src1_sel:WORD_1
	v_add_f16_e32 v32, v64, v32
	s_mov_b32 s4, 0xbbc43b15
	v_add_f16_e32 v32, v67, v32
	v_mul_f16_e32 v76, 0xb94e, v38
	s_mov_b32 s5, 0x3770b3a8
	v_add_f16_e32 v32, v70, v32
	v_pk_mul_f16 v57, v41, s4
	v_fma_f16 v28, v61, s20, -v76
	v_add_f16_e32 v32, v72, v32
	v_pk_fma_f16 v74, v38, s5, v57 op_sel:[0,0,1] op_sel_hi:[1,1,0] neg_lo:[1,0,0] neg_hi:[1,0,0]
	v_add_f16_e32 v28, v28, v34
	v_add_f16_e32 v34, v74, v32
	v_add_f16_sdwa v32, v63, v0 dst_sel:DWORD dst_unused:UNUSED_PAD src0_sel:WORD_1 src1_sel:DWORD
	v_add_f16_sdwa v32, v65, v32 dst_sel:DWORD dst_unused:UNUSED_PAD src0_sel:WORD_1 src1_sel:DWORD
	v_add_f16_sdwa v32, v68, v32 dst_sel:DWORD dst_unused:UNUSED_PAD src0_sel:WORD_1 src1_sel:DWORD
	v_add_f16_sdwa v32, v71, v32 dst_sel:DWORD dst_unused:UNUSED_PAD src0_sel:WORD_1 src1_sel:DWORD
	v_pk_fma_f16 v75, v38, s5, v57 op_sel:[0,0,1] op_sel_hi:[1,1,0]
	v_add_f16_sdwa v32, v73, v32 dst_sel:DWORD dst_unused:UNUSED_PAD src0_sel:WORD_1 src1_sel:DWORD
	s_movk_i32 s28, 0x394e
	s_movk_i32 s23, 0x3bf1
	v_add_f16_sdwa v57, v75, v32 dst_sel:DWORD dst_unused:UNUSED_PAD src0_sel:WORD_1 src1_sel:DWORD
	v_mul_lo_u16_e32 v32, 13, v30
	s_barrier
	s_and_saveexec_b64 s[4:5], s[0:1]
	s_cbranch_execz .LBB0_7
; %bb.6:
	v_mul_f16_e32 v77, 0xb5ac, v37
	v_fma_f16 v78, v14, s26, v77
	v_mul_f16_e32 v79, 0xb9fd, v42
	v_add_f16_sdwa v78, v78, v0 dst_sel:DWORD dst_unused:UNUSED_PAD src0_sel:DWORD src1_sel:WORD_1
	v_fma_f16 v80, v16, s21, v79
	v_add_f16_e32 v78, v80, v78
	v_mul_f16_e32 v80, 0x3b15, v46
	v_fma_f16 v81, v18, s25, v80
	v_add_f16_e32 v78, v81, v78
	v_mul_f16_e32 v81, 0x2fb7, v52
	;; [unrolled: 3-line block ×4, first 2 shown]
	v_fma_f16 v84, v38, s24, v83
	v_fma_f16 v77, v14, s18, v77
	v_add_f16_e32 v78, v84, v78
	v_mul_f16_sdwa v84, v14, s18 dst_sel:DWORD dst_unused:UNUSED_PAD src0_sel:WORD_1 src1_sel:DWORD
	v_add_f16_sdwa v77, v77, v0 dst_sel:DWORD dst_unused:UNUSED_PAD src0_sel:DWORD src1_sel:WORD_1
	v_fma_f16 v79, v16, s28, v79
	v_fma_f16 v85, v15, s9, v84
	v_mul_f16_sdwa v86, v16, s28 dst_sel:DWORD dst_unused:UNUSED_PAD src0_sel:WORD_1 src1_sel:DWORD
	v_add_f16_e32 v77, v79, v77
	v_fma_f16 v79, v18, s19, v80
	v_add_f16_e32 v85, v85, v0
	v_fma_f16 v87, v17, s20, v86
	s_movk_i32 s29, 0x33a8
	v_add_f16_e32 v77, v79, v77
	v_fma_f16 v79, v21, s22, v81
	v_add_f16_e32 v85, v87, v85
	v_mul_f16_sdwa v87, v18, s19 dst_sel:DWORD dst_unused:UNUSED_PAD src0_sel:WORD_1 src1_sel:DWORD
	s_movk_i32 s27, 0x3a95
	v_add_f16_e32 v77, v79, v77
	v_fma_f16 v79, v25, s29, v82
	v_fma_f16 v88, v20, s6, v87
	v_add_f16_e32 v77, v79, v77
	v_fma_f16 v79, v38, s27, v83
	v_add_f16_e32 v85, v88, v85
	v_mul_f16_sdwa v88, v21, s22 dst_sel:DWORD dst_unused:UNUSED_PAD src0_sel:WORD_1 src1_sel:DWORD
	v_add_f16_e32 v77, v79, v77
	v_fma_f16 v79, v15, s9, -v84
	v_fma_f16 v89, v23, s8, v88
	v_add_f16_e32 v79, v79, v0
	v_fma_f16 v80, v17, s20, -v86
	v_add_f16_e32 v85, v89, v85
	v_mul_f16_sdwa v89, v25, s29 dst_sel:DWORD dst_unused:UNUSED_PAD src0_sel:WORD_1 src1_sel:DWORD
	v_add_f16_e32 v79, v80, v79
	v_fma_f16 v80, v20, s6, -v87
	v_fma_f16 v90, v36, s11, v89
	v_add_f16_e32 v79, v80, v79
	v_fma_f16 v80, v23, s8, -v88
	v_add_f16_e32 v85, v90, v85
	v_mul_f16_sdwa v90, v38, s27 dst_sel:DWORD dst_unused:UNUSED_PAD src0_sel:WORD_1 src1_sel:DWORD
	v_add_f16_e32 v79, v80, v79
	v_fma_f16 v80, v36, s11, -v89
	v_add_f16_e32 v79, v80, v79
	v_fma_f16 v80, v41, s7, -v90
	v_add_f16_e32 v79, v80, v79
	v_mul_f16_e32 v80, 0x2fb7, v37
	v_add_f16_e32 v49, v49, v80
	v_mul_f16_e32 v80, 0xbbc4, v42
	v_add_f16_e32 v50, v50, v80
	v_add_f16_sdwa v49, v49, v0 dst_sel:DWORD dst_unused:UNUSED_PAD src0_sel:DWORD src1_sel:WORD_1
	v_fma_f16 v91, v41, s7, v90
	v_add_f16_e32 v49, v50, v49
	v_mul_f16_e32 v50, 0xb5ac, v46
	v_add_f16_e32 v85, v91, v85
	v_mul_f16_e32 v91, 0xb9fd, v37
	v_add_f16_e32 v50, v55, v50
	v_fma_f16 v92, v14, s28, v91
	v_mul_f16_e32 v93, 0x2fb7, v42
	v_add_f16_e32 v49, v50, v49
	v_mul_f16_e32 v50, 0x3b15, v52
	v_add_f16_sdwa v92, v92, v0 dst_sel:DWORD dst_unused:UNUSED_PAD src0_sel:DWORD src1_sel:WORD_1
	v_fma_f16 v94, v16, s22, v93
	v_add_f16_e32 v50, v60, v50
	v_add_f16_e32 v92, v94, v92
	v_mul_f16_e32 v94, 0x388b, v46
	v_add_f16_e32 v49, v50, v49
	v_mul_f16_e32 v50, 0x388b, v56
	v_fma_f16 v95, v18, s27, v94
	v_add_f16_e32 v50, v69, v50
	v_add_f16_e32 v92, v95, v92
	v_mul_f16_e32 v95, 0xbbc4, v52
	v_add_f16_e32 v49, v50, v49
	v_mul_f16_e32 v50, 0xb9fd, v61
	v_fma_f16 v96, v21, s10, v95
	v_add_f16_e32 v50, v76, v50
	v_add_f16_e32 v92, v96, v92
	v_mul_f16_e32 v96, 0x3b15, v56
	v_mul_f16_e32 v37, 0x388b, v37
	v_add_f16_e32 v49, v50, v49
	v_mul_f16_e32 v50, 0x2fb7, v15
	v_fma_f16 v97, v25, s25, v96
	v_fma_f16 v91, v14, s21, v91
	v_sub_f16_e32 v39, v50, v39
	v_mul_f16_e32 v50, 0xbbc4, v17
	v_mul_f16_e32 v42, 0xb5ac, v42
	v_add_f16_e32 v24, v24, v37
	v_add_f16_e32 v92, v97, v92
	v_mul_f16_e32 v97, 0xb5ac, v61
	v_add_f16_sdwa v91, v91, v0 dst_sel:DWORD dst_unused:UNUSED_PAD src0_sel:DWORD src1_sel:WORD_1
	v_fma_f16 v93, v16, s23, v93
	v_sub_f16_e32 v44, v50, v44
	v_add_f16_e32 v39, v39, v0
	v_mul_f16_e32 v46, 0xbbc4, v46
	v_add_f16_sdwa v24, v24, v0 dst_sel:DWORD dst_unused:UNUSED_PAD src0_sel:DWORD src1_sel:WORD_1
	v_add_f16_e32 v35, v35, v42
	v_fma_f16 v98, v38, s26, v97
	v_add_f16_e32 v91, v93, v91
	v_fma_f16 v93, v18, s24, v94
	v_add_f16_e32 v39, v44, v39
	v_mul_f16_e32 v44, 0xb5ac, v20
	v_mul_f16_e32 v52, 0xb9fd, v52
	v_add_f16_e32 v24, v35, v24
	v_add_f16_e32 v35, v43, v46
	;; [unrolled: 1-line block ×3, first 2 shown]
	v_mul_f16_sdwa v98, v14, s21 dst_sel:DWORD dst_unused:UNUSED_PAD src0_sel:WORD_1 src1_sel:DWORD
	v_add_f16_e32 v91, v93, v91
	v_fma_f16 v93, v21, s29, v95
	v_alignbit_b32 v55, v0, v0, 16
	v_sub_f16_e32 v44, v44, v48
	v_mul_f16_e32 v56, 0x2fb7, v56
	v_add_f16_e32 v24, v35, v24
	v_add_f16_e32 v35, v47, v52
	v_fma_f16 v99, v15, s20, v98
	v_mul_f16_sdwa v100, v16, s23 dst_sel:DWORD dst_unused:UNUSED_PAD src0_sel:WORD_1 src1_sel:DWORD
	v_add_f16_e32 v91, v93, v91
	v_fma_f16 v93, v25, s19, v96
	v_add_f16_e32 v39, v44, v39
	v_mul_f16_e32 v44, 0x3b15, v23
	v_mul_f16_e32 v61, 0x3b15, v61
	v_add_f16_e32 v24, v35, v24
	v_add_f16_e32 v35, v53, v56
	v_pk_add_f16 v1, v1, v55 op_sel:[0,1] op_sel_hi:[1,0]
	v_add_f16_e32 v99, v99, v0
	v_fma_f16 v101, v17, s8, v100
	v_add_f16_e32 v91, v93, v91
	v_fma_f16 v93, v38, s18, v97
	v_mul_f16_e32 v60, 0x3b15, v15
	v_sub_f16_e32 v44, v44, v54
	v_add_f16_e32 v24, v35, v24
	v_add_f16_e32 v35, v59, v61
	s_mov_b32 s22, 0xffff
	v_pk_add_f16 v1, v2, v1
	v_add_f16_e32 v99, v101, v99
	v_mul_f16_sdwa v101, v18, s24 dst_sel:DWORD dst_unused:UNUSED_PAD src0_sel:WORD_1 src1_sel:DWORD
	v_add_f16_e32 v91, v93, v91
	v_fma_f16 v93, v15, s20, -v98
	v_mul_f16_e32 v50, 0x388b, v17
	v_add_f16_e32 v39, v44, v39
	v_mul_f16_e32 v44, 0x388b, v36
	v_add_f16_e32 v24, v35, v24
	v_bfi_b32 v35, s22, v63, v62
	v_sub_f16_e32 v19, v60, v19
	v_pk_add_f16 v1, v3, v1
	v_fma_f16 v102, v20, s7, v101
	v_add_f16_e32 v93, v93, v0
	v_mul_f16_e32 v48, 0x2fb7, v20
	v_sub_f16_e32 v44, v44, v58
	v_bfi_b32 v37, s22, v65, v64
	v_add_f16_e32 v0, v19, v0
	v_sub_f16_e32 v19, v50, v22
	v_pk_add_f16 v1, v4, v1
	v_pk_add_f16 v2, v35, v55
	v_add_f16_e32 v99, v102, v99
	v_mul_f16_sdwa v102, v21, s29 dst_sel:DWORD dst_unused:UNUSED_PAD src0_sel:WORD_1 src1_sel:DWORD
	v_mul_f16_e32 v54, 0xb5ac, v23
	v_add_f16_e32 v39, v44, v39
	v_mul_f16_e32 v44, 0xb9fd, v41
	v_bfi_b32 v42, s22, v68, v67
	v_add_f16_e32 v0, v19, v0
	v_sub_f16_e32 v19, v48, v31
	v_pk_add_f16 v1, v5, v1
	v_pk_add_f16 v2, v37, v2
	v_fma_f16 v103, v23, s11, v102
	v_fma_f16 v94, v17, s8, -v100
	v_mul_f16_e32 v58, 0xb9fd, v36
	v_sub_f16_e32 v44, v44, v66
	v_bfi_b32 v43, s22, v71, v70
	v_add_f16_e32 v0, v19, v0
	v_sub_f16_e32 v19, v54, v40
	v_pk_add_f16 v1, v6, v1
	v_pk_add_f16 v2, v42, v2
	v_add_f16_e32 v99, v103, v99
	v_mul_f16_sdwa v103, v25, s19 dst_sel:DWORD dst_unused:UNUSED_PAD src0_sel:WORD_1 src1_sel:DWORD
	v_add_f16_e32 v93, v94, v93
	v_fma_f16 v94, v20, s7, -v101
	v_mul_f16_e32 v66, 0xbbc4, v41
	v_add_f16_e32 v39, v44, v39
	v_bfi_b32 v44, s22, v73, v72
	v_add_f16_e32 v0, v19, v0
	v_sub_f16_e32 v19, v58, v45
	v_pk_add_f16 v1, v7, v1
	v_pk_add_f16 v2, v43, v2
	v_fma_f16 v104, v36, s6, v103
	v_add_f16_e32 v93, v94, v93
	v_fma_f16 v94, v23, s11, -v102
	v_bfi_b32 v46, s22, v75, v74
	v_add_f16_e32 v0, v19, v0
	v_sub_f16_e32 v19, v66, v51
	v_pk_add_f16 v1, v9, v1
	v_pk_add_f16 v2, v44, v2
	v_add_f16_e32 v99, v104, v99
	v_mul_f16_sdwa v104, v38, s18 dst_sel:DWORD dst_unused:UNUSED_PAD src0_sel:WORD_1 src1_sel:DWORD
	v_add_f16_e32 v93, v94, v93
	v_fma_f16 v94, v36, s6, -v103
	v_add_f16_e32 v0, v19, v0
	v_pk_add_f16 v1, v10, v1
	v_pk_add_f16 v2, v46, v2
	v_add_f16_e32 v93, v94, v93
	v_fma_f16 v94, v41, s9, -v104
	v_lshlrev_b32_e32 v19, 2, v32
	v_pk_add_f16 v1, v11, v1
	v_alignbit_b32 v3, v24, v2, 16
	v_pack_b32_f16 v0, v0, v2
	v_add_f16_e32 v93, v94, v93
	v_pk_add_f16 v1, v12, v1
	ds_write2_b32 v19, v0, v3 offset0:1 offset1:2
	v_pack_b32_f16 v0, v39, v49
	v_pack_b32_f16 v2, v79, v77
	v_pk_add_f16 v1, v13, v1
	ds_write2_b32 v19, v0, v2 offset0:3 offset1:4
	v_pack_b32_f16 v0, v93, v91
	ds_write2_b32 v19, v1, v0 offset1:5
	v_pk_mul_f16 v0, v15, s11 op_sel_hi:[1,0]
	v_pk_fma_f16 v1, v14, s10, v0 op_sel:[0,0,1] op_sel_hi:[1,0,0] neg_lo:[1,0,0] neg_hi:[1,0,0]
	v_pk_mul_f16 v2, v17, s6 op_sel_hi:[1,0]
	v_pk_add_f16 v1, v1, v55
	v_pk_fma_f16 v3, v16, s19, v2 op_sel:[0,0,1] op_sel_hi:[1,0,0] neg_lo:[1,0,0] neg_hi:[1,0,0]
	v_pk_add_f16 v1, v3, v1
	v_pk_mul_f16 v3, v20, s20 op_sel_hi:[1,0]
	v_pk_fma_f16 v4, v18, s21, v3 op_sel:[0,0,1] op_sel_hi:[1,0,0] neg_lo:[1,0,0] neg_hi:[1,0,0]
	v_pk_add_f16 v1, v4, v1
	v_pk_mul_f16 v4, v23, s7 op_sel_hi:[1,0]
	v_pk_fma_f16 v0, v14, s10, v0 op_sel:[0,0,1] op_sel_hi:[1,0,0]
	v_pk_fma_f16 v5, v21, s27, v4 op_sel:[0,0,1] op_sel_hi:[1,0,0] neg_lo:[1,0,0] neg_hi:[1,0,0]
	v_pk_add_f16 v0, v0, v55
	v_pk_fma_f16 v2, v16, s19, v2 op_sel:[0,0,1] op_sel_hi:[1,0,0]
	v_pk_add_f16 v1, v5, v1
	v_pk_mul_f16 v5, v36, s9 op_sel_hi:[1,0]
	v_pk_add_f16 v0, v2, v0
	v_pk_fma_f16 v2, v18, s21, v3 op_sel:[0,0,1] op_sel_hi:[1,0,0]
	v_pk_fma_f16 v6, v25, s18, v5 op_sel:[0,0,1] op_sel_hi:[1,0,0] neg_lo:[1,0,0] neg_hi:[1,0,0]
	v_pk_add_f16 v0, v2, v0
	v_pk_fma_f16 v2, v21, s27, v4 op_sel:[0,0,1] op_sel_hi:[1,0,0]
	v_pk_add_f16 v1, v6, v1
	v_pk_mul_f16 v6, v41, s8 op_sel_hi:[1,0]
	v_pk_add_f16 v0, v2, v0
	v_pk_fma_f16 v2, v25, s18, v5 op_sel:[0,0,1] op_sel_hi:[1,0,0]
	v_pk_fma_f16 v7, v38, s23, v6 op_sel:[0,0,1] op_sel_hi:[1,0,0] neg_lo:[1,0,0] neg_hi:[1,0,0]
	v_pk_add_f16 v0, v2, v0
	v_pk_fma_f16 v2, v38, s23, v6 op_sel:[0,0,1] op_sel_hi:[1,0,0]
	v_fma_f16 v105, v41, s9, v104
	v_pk_add_f16 v1, v7, v1
	v_pk_add_f16 v0, v2, v0
	v_add_f16_e32 v99, v105, v99
	v_alignbit_b32 v2, v1, v0, 16
	v_alignbit_b32 v0, v0, v1, 16
	ds_write2_b32 v19, v0, v2 offset0:6 offset1:7
	v_pack_b32_f16 v0, v85, v78
	v_pack_b32_f16 v1, v99, v92
	s_mov_b32 s6, 0x5040100
	ds_write2_b32 v19, v1, v0 offset0:8 offset1:9
	v_perm_b32 v0, v27, v57, s6
	v_perm_b32 v1, v28, v26, s6
	ds_write2_b32 v19, v1, v0 offset0:10 offset1:11
	v_perm_b32 v0, v34, v33, s6
	ds_write_b32 v19, v0 offset:48
.LBB0_7:
	s_or_b64 exec, exec, s[4:5]
	s_movk_i32 s18, 0x4f
	v_add_co_u32_e32 v13, vcc, 0x9c, v30
	v_mul_lo_u16_sdwa v14, v30, s18 dst_sel:DWORD dst_unused:UNUSED_PAD src0_sel:BYTE_0 src1_sel:DWORD
	s_movk_i32 s18, 0x4ec5
	s_mov_b64 s[6:7], vcc
	v_add_co_u32_e32 v9, vcc, 0x138, v30
	v_lshrrev_b16_e32 v15, 10, v14
	v_mul_u32_u24_sdwa v17, v13, s18 dst_sel:DWORD dst_unused:UNUSED_PAD src0_sel:WORD_0 src1_sel:DWORD
	v_mul_lo_u16_e32 v0, 13, v15
	v_lshrrev_b32_e32 v18, 18, v17
	v_mul_u32_u24_sdwa v21, v9, s18 dst_sel:DWORD dst_unused:UNUSED_PAD src0_sel:WORD_0 src1_sel:DWORD
	v_sub_u16_e32 v0, v30, v0
	v_mul_lo_u16_e32 v1, 13, v18
	v_lshrrev_b32_e32 v22, 18, v21
	s_load_dwordx4 s[8:11], s[2:3], 0x0
	s_mov_b64 s[2:3], vcc
	v_add_co_u32_e32 v19, vcc, 0x1d4, v30
	v_and_b32_e32 v16, 0xff, v0
	v_sub_u16_e32 v20, v13, v1
	v_mul_lo_u16_e32 v2, 13, v22
	v_lshlrev_b32_e32 v0, 2, v16
	v_lshlrev_b32_e32 v1, 2, v20
	v_sub_u16_e32 v23, v9, v2
	v_mul_u32_u24_sdwa v24, v19, s18 dst_sel:DWORD dst_unused:UNUSED_PAD src0_sel:WORD_0 src1_sel:DWORD
	s_waitcnt lgkmcnt(0)
	s_barrier
	global_load_dword v37, v0, s[16:17]
	global_load_dword v36, v1, s[16:17]
	v_lshlrev_b32_e32 v0, 2, v23
	v_lshrrev_b32_e32 v25, 18, v24
	s_mov_b64 s[4:5], vcc
	v_add_co_u32_e32 v12, vcc, 0x270, v30
	global_load_dword v35, v0, s[16:17]
	v_mul_lo_u16_e32 v0, 13, v25
	v_sub_u16_e32 v43, v19, v0
	v_mul_u32_u24_sdwa v48, v12, s18 dst_sel:DWORD dst_unused:UNUSED_PAD src0_sel:WORD_0 src1_sel:DWORD
	v_lshlrev_b32_e32 v0, 2, v43
	v_lshrrev_b32_e32 v44, 18, v48
	global_load_dword v38, v0, s[16:17]
	v_mul_lo_u16_e32 v0, 13, v44
	v_sub_u16_e32 v45, v12, v0
	v_lshlrev_b32_e32 v0, 2, v45
	global_load_dword v39, v0, s[16:17]
	v_mov_b32_e32 v0, 2
	v_lshlrev_b32_sdwa v31, v0, v30 dst_sel:DWORD dst_unused:UNUSED_PAD src0_sel:DWORD src1_sel:WORD_0
	v_add_u32_e32 v56, 0x900, v31
	ds_read2_b32 v[0:1], v31 offset1:156
	v_add_u32_e32 v58, 0xe00, v31
	v_add_u32_e32 v59, 0x400, v31
	;; [unrolled: 1-line block ×3, first 2 shown]
	ds_read2_b32 v[2:3], v56 offset0:48 offset1:204
	ds_read2_b32 v[4:5], v58 offset0:40 offset1:196
	;; [unrolled: 1-line block ×4, first 2 shown]
	s_waitcnt lgkmcnt(4)
	v_lshrrev_b32_e32 v40, 16, v0
	s_waitcnt lgkmcnt(3)
	v_lshrrev_b32_e32 v42, 16, v3
	;; [unrolled: 2-line block ×3, first 2 shown]
	v_lshrrev_b32_e32 v41, 16, v1
	s_waitcnt lgkmcnt(0)
	v_lshrrev_b32_e32 v51, 16, v10
	v_lshrrev_b32_e32 v53, 16, v11
	;; [unrolled: 1-line block ×3, first 2 shown]
	v_mul_u32_u24_e32 v15, 26, v15
	v_lshrrev_b32_e32 v47, 16, v6
	s_waitcnt vmcnt(0)
	s_barrier
	v_lshrrev_b32_e32 v50, 16, v7
	v_lshrrev_b32_e32 v52, 16, v2
	;; [unrolled: 1-line block ×3, first 2 shown]
	s_mov_b32 s20, 0xb8b4
	s_movk_i32 s21, 0x3a79
	v_mul_f16_sdwa v54, v42, v37 dst_sel:DWORD dst_unused:UNUSED_PAD src0_sel:DWORD src1_sel:WORD_1
	v_mul_f16_sdwa v55, v3, v37 dst_sel:DWORD dst_unused:UNUSED_PAD src0_sel:DWORD src1_sel:WORD_1
	v_fma_f16 v3, v3, v37, -v54
	v_fma_f16 v42, v42, v37, v55
	v_mul_f16_sdwa v61, v46, v36 dst_sel:DWORD dst_unused:UNUSED_PAD src0_sel:DWORD src1_sel:WORD_1
	v_mul_f16_sdwa v62, v4, v36 dst_sel:DWORD dst_unused:UNUSED_PAD src0_sel:DWORD src1_sel:WORD_1
	v_sub_f16_e32 v3, v0, v3
	v_sub_f16_e32 v42, v40, v42
	v_fma_f16 v4, v4, v36, -v61
	v_fma_f16 v46, v46, v36, v62
	v_fma_f16 v0, v0, 2.0, -v3
	v_mul_f16_sdwa v63, v49, v35 dst_sel:DWORD dst_unused:UNUSED_PAD src0_sel:DWORD src1_sel:WORD_1
	v_mul_f16_sdwa v64, v5, v35 dst_sel:DWORD dst_unused:UNUSED_PAD src0_sel:DWORD src1_sel:WORD_1
	;; [unrolled: 1-line block ×4, first 2 shown]
	v_fma_f16 v10, v10, v38, -v54
	v_fma_f16 v51, v51, v38, v55
	v_mul_f16_sdwa v54, v53, v39 dst_sel:DWORD dst_unused:UNUSED_PAD src0_sel:DWORD src1_sel:WORD_1
	v_mul_f16_sdwa v55, v11, v39 dst_sel:DWORD dst_unused:UNUSED_PAD src0_sel:DWORD src1_sel:WORD_1
	v_fma_f16 v11, v11, v39, -v54
	v_fma_f16 v54, v40, 2.0, -v42
	v_sub_f16_e32 v4, v1, v4
	v_sub_f16_e32 v46, v41, v46
	v_add_lshl_u32 v40, v15, v16, 2
	v_pack_b32_f16 v0, v0, v54
	v_pack_b32_f16 v3, v3, v42
	v_fma_f16 v5, v5, v35, -v63
	v_fma_f16 v49, v49, v35, v64
	v_fma_f16 v53, v53, v39, v55
	v_fma_f16 v1, v1, 2.0, -v4
	v_fma_f16 v55, v41, 2.0, -v46
	ds_write2_b32 v40, v0, v3 offset1:13
	v_mad_legacy_u16 v0, v18, 26, v20
	v_sub_f16_e32 v5, v6, v5
	v_sub_f16_e32 v49, v47, v49
	v_lshlrev_b32_e32 v41, 2, v0
	v_pack_b32_f16 v0, v1, v55
	v_pack_b32_f16 v1, v4, v46
	v_fma_f16 v6, v6, 2.0, -v5
	v_fma_f16 v47, v47, 2.0, -v49
	ds_write2_b32 v41, v0, v1 offset1:13
	v_mad_legacy_u16 v0, v22, 26, v23
	v_sub_f16_e32 v10, v7, v10
	v_sub_f16_e32 v51, v50, v51
	v_lshlrev_b32_e32 v42, 2, v0
	v_pack_b32_f16 v0, v6, v47
	v_pack_b32_f16 v1, v5, v49
	;; [unrolled: 9-line block ×3, first 2 shown]
	v_fma_f16 v2, v2, 2.0, -v11
	v_fma_f16 v52, v52, 2.0, -v53
	ds_write2_b32 v43, v0, v1 offset1:13
	v_mad_legacy_u16 v0, v44, 26, v45
	v_lshlrev_b32_e32 v44, 2, v0
	v_pack_b32_f16 v0, v2, v52
	v_pack_b32_f16 v1, v11, v53
	v_lshrrev_b16_e32 v15, 11, v14
	ds_write2_b32 v44, v0, v1 offset1:13
	v_mul_lo_u16_e32 v0, 26, v15
	v_sub_u16_e32 v0, v30, v0
	v_and_b32_e32 v16, 0xff, v0
	v_mul_lo_u16_e32 v1, 26, v17
	v_lshlrev_b32_e32 v0, 2, v16
	v_sub_u16_e32 v18, v13, v1
	s_waitcnt lgkmcnt(0)
	s_barrier
	v_lshlrev_b32_e32 v1, 2, v18
	global_load_dword v45, v0, s[16:17] offset:52
	global_load_dword v46, v1, s[16:17] offset:52
	v_lshrrev_b32_e32 v20, 19, v21
	v_mul_lo_u16_e32 v0, 26, v20
	v_lshrrev_b32_e32 v22, 19, v24
	v_sub_u16_e32 v21, v9, v0
	v_mul_lo_u16_e32 v1, 26, v22
	v_lshlrev_b32_e32 v0, 2, v21
	v_sub_u16_e32 v23, v19, v1
	global_load_dword v47, v0, s[16:17] offset:52
	v_lshlrev_b32_e32 v0, 2, v23
	v_lshrrev_b32_e32 v24, 19, v48
	global_load_dword v48, v0, s[16:17] offset:52
	v_mul_lo_u16_e32 v0, 26, v24
	v_sub_u16_e32 v12, v12, v0
	v_lshlrev_b32_e32 v0, 2, v12
	global_load_dword v49, v0, s[16:17] offset:52
	ds_read2_b32 v[0:1], v31 offset1:156
	ds_read2_b32 v[2:3], v56 offset0:48 offset1:204
	ds_read2_b32 v[4:5], v58 offset0:40 offset1:196
	;; [unrolled: 1-line block ×4, first 2 shown]
	v_mul_u32_u24_e32 v15, 52, v15
	s_waitcnt lgkmcnt(4)
	v_lshrrev_b32_e32 v25, 16, v0
	s_waitcnt lgkmcnt(3)
	v_lshrrev_b32_e32 v50, 16, v3
	;; [unrolled: 2-line block ×3, first 2 shown]
	v_lshrrev_b32_e32 v54, 16, v5
	s_waitcnt lgkmcnt(0)
	v_lshrrev_b32_e32 v61, 16, v10
	v_lshrrev_b32_e32 v63, 16, v11
	;; [unrolled: 1-line block ×4, first 2 shown]
	s_waitcnt vmcnt(0)
	s_barrier
	v_lshrrev_b32_e32 v55, 16, v7
	v_lshrrev_b32_e32 v62, 16, v2
	v_mul_f16_sdwa v64, v50, v45 dst_sel:DWORD dst_unused:UNUSED_PAD src0_sel:DWORD src1_sel:WORD_1
	v_fma_f16 v64, v3, v45, -v64
	v_mul_f16_sdwa v3, v3, v45 dst_sel:DWORD dst_unused:UNUSED_PAD src0_sel:DWORD src1_sel:WORD_1
	v_fma_f16 v3, v50, v45, v3
	v_mul_f16_sdwa v50, v52, v46 dst_sel:DWORD dst_unused:UNUSED_PAD src0_sel:DWORD src1_sel:WORD_1
	v_fma_f16 v50, v4, v46, -v50
	v_mul_f16_sdwa v4, v4, v46 dst_sel:DWORD dst_unused:UNUSED_PAD src0_sel:DWORD src1_sel:WORD_1
	v_fma_f16 v4, v52, v46, v4
	v_sub_f16_e32 v3, v25, v3
	v_mul_f16_sdwa v52, v54, v47 dst_sel:DWORD dst_unused:UNUSED_PAD src0_sel:DWORD src1_sel:WORD_1
	v_fma_f16 v52, v5, v47, -v52
	v_mul_f16_sdwa v5, v5, v47 dst_sel:DWORD dst_unused:UNUSED_PAD src0_sel:DWORD src1_sel:WORD_1
	v_fma_f16 v5, v54, v47, v5
	v_mul_f16_sdwa v54, v61, v48 dst_sel:DWORD dst_unused:UNUSED_PAD src0_sel:DWORD src1_sel:WORD_1
	v_fma_f16 v54, v10, v48, -v54
	v_mul_f16_sdwa v10, v10, v48 dst_sel:DWORD dst_unused:UNUSED_PAD src0_sel:DWORD src1_sel:WORD_1
	v_fma_f16 v10, v61, v48, v10
	;; [unrolled: 4-line block ×3, first 2 shown]
	v_sub_f16_e32 v63, v0, v64
	v_fma_f16 v0, v0, 2.0, -v63
	v_fma_f16 v25, v25, 2.0, -v3
	v_sub_f16_e32 v64, v1, v50
	v_sub_f16_e32 v4, v51, v4
	v_add_lshl_u32 v50, v15, v16, 2
	v_pack_b32_f16 v0, v0, v25
	v_pack_b32_f16 v3, v63, v3
	v_fma_f16 v1, v1, 2.0, -v64
	v_fma_f16 v65, v51, 2.0, -v4
	ds_write2_b32 v50, v0, v3 offset1:26
	v_mad_legacy_u16 v0, v17, 52, v18
	v_sub_f16_e32 v66, v6, v52
	v_sub_f16_e32 v5, v53, v5
	v_lshlrev_b32_e32 v51, 2, v0
	v_pack_b32_f16 v0, v1, v65
	v_pack_b32_f16 v1, v64, v4
	v_fma_f16 v6, v6, 2.0, -v66
	v_fma_f16 v53, v53, 2.0, -v5
	ds_write2_b32 v51, v0, v1 offset1:26
	v_mad_legacy_u16 v0, v20, 52, v21
	v_sub_f16_e32 v54, v7, v54
	v_sub_f16_e32 v10, v55, v10
	v_lshlrev_b32_e32 v52, 2, v0
	;; [unrolled: 9-line block ×3, first 2 shown]
	v_pack_b32_f16 v0, v7, v55
	v_pack_b32_f16 v1, v54, v10
	v_fma_f16 v2, v2, 2.0, -v61
	v_fma_f16 v62, v62, 2.0, -v11
	ds_write2_b32 v53, v0, v1 offset1:26
	v_mad_legacy_u16 v0, v24, 52, v12
	v_lshlrev_b32_e32 v54, 2, v0
	v_pack_b32_f16 v0, v2, v62
	v_pack_b32_f16 v1, v61, v11
	v_lshrrev_b16_e32 v12, 12, v14
	ds_write2_b32 v54, v0, v1 offset1:26
	v_mul_lo_u16_e32 v0, 52, v12
	v_sub_u16_e32 v0, v30, v0
	v_and_b32_e32 v24, 0xff, v0
	v_mad_u64_u32 v[10:11], s[18:19], v24, 36, s[16:17]
	s_waitcnt lgkmcnt(0)
	s_barrier
	global_load_dwordx4 v[0:3], v[10:11], off offset:156
	global_load_dwordx4 v[4:7], v[10:11], off offset:172
	global_load_dword v55, v[10:11], off offset:188
	ds_read2_b32 v[10:11], v31 offset1:156
	ds_read2_b32 v[15:16], v59 offset0:56 offset1:212
	ds_read2_b32 v[17:18], v56 offset0:48 offset1:204
	;; [unrolled: 1-line block ×4, first 2 shown]
	s_waitcnt lgkmcnt(4)
	v_lshrrev_b32_e32 v59, 16, v11
	s_waitcnt lgkmcnt(3)
	v_lshrrev_b32_e32 v56, 16, v15
	v_lshrrev_b32_e32 v58, 16, v16
	s_waitcnt lgkmcnt(2)
	v_lshrrev_b32_e32 v60, 16, v17
	;; [unrolled: 3-line block ×4, first 2 shown]
	v_addc_co_u32_e64 v14, s[6:7], 0, 0, s[6:7]
	s_movk_i32 s6, 0x3b9c
	s_mov_b32 s19, 0xbb9c
	v_lshrrev_b32_e32 v65, 16, v23
	s_movk_i32 s7, 0x38b4
	s_movk_i32 s18, 0x34f2
	v_lshrrev_b32_e32 v25, 16, v10
	v_mul_u32_u24_e32 v12, 0x208, v12
	s_waitcnt vmcnt(0)
	s_barrier
	v_mul_f16_sdwa v66, v59, v0 dst_sel:DWORD dst_unused:UNUSED_PAD src0_sel:DWORD src1_sel:WORD_1
	v_fma_f16 v66, v11, v0, -v66
	v_mul_f16_sdwa v11, v11, v0 dst_sel:DWORD dst_unused:UNUSED_PAD src0_sel:DWORD src1_sel:WORD_1
	v_fma_f16 v11, v59, v0, v11
	v_mul_f16_sdwa v59, v56, v1 dst_sel:DWORD dst_unused:UNUSED_PAD src0_sel:DWORD src1_sel:WORD_1
	v_fma_f16 v59, v15, v1, -v59
	v_mul_f16_sdwa v15, v15, v1 dst_sel:DWORD dst_unused:UNUSED_PAD src0_sel:DWORD src1_sel:WORD_1
	v_fma_f16 v15, v56, v1, v15
	;; [unrolled: 4-line block ×8, first 2 shown]
	v_add_f16_e32 v67, v58, v61
	v_fma_f16 v67, v67, -0.5, v10
	v_sub_f16_e32 v68, v15, v22
	v_fma_f16 v69, v68, s6, v67
	v_sub_f16_e32 v70, v17, v20
	v_sub_f16_e32 v71, v59, v58
	;; [unrolled: 1-line block ×3, first 2 shown]
	v_fma_f16 v67, v68, s19, v67
	v_mul_f16_sdwa v64, v65, v55 dst_sel:DWORD dst_unused:UNUSED_PAD src0_sel:DWORD src1_sel:WORD_1
	v_fma_f16 v69, v70, s7, v69
	v_add_f16_e32 v71, v71, v72
	v_fma_f16 v67, v70, s20, v67
	v_fma_f16 v64, v23, v55, -v64
	v_mul_f16_sdwa v23, v23, v55 dst_sel:DWORD dst_unused:UNUSED_PAD src0_sel:DWORD src1_sel:WORD_1
	v_fma_f16 v69, v71, s18, v69
	v_fma_f16 v67, v71, s18, v67
	v_add_f16_e32 v71, v59, v63
	v_fma_f16 v23, v65, v55, v23
	v_add_f16_e32 v65, v10, v59
	v_fma_f16 v10, v71, -0.5, v10
	v_add_f16_e32 v65, v65, v58
	v_fma_f16 v71, v70, s19, v10
	v_fma_f16 v10, v70, s6, v10
	v_add_f16_e32 v70, v17, v20
	v_add_f16_e32 v65, v65, v61
	v_sub_f16_e32 v72, v58, v59
	v_sub_f16_e32 v73, v61, v63
	v_fma_f16 v70, v70, -0.5, v25
	v_sub_f16_e32 v59, v59, v63
	v_add_f16_e32 v65, v65, v63
	v_fma_f16 v71, v68, s7, v71
	v_add_f16_e32 v72, v72, v73
	v_fma_f16 v10, v68, s20, v10
	v_fma_f16 v63, v59, s19, v70
	v_sub_f16_e32 v58, v58, v61
	v_fma_f16 v71, v72, s18, v71
	v_fma_f16 v10, v72, s18, v10
	;; [unrolled: 1-line block ×3, first 2 shown]
	v_sub_f16_e32 v63, v15, v17
	v_sub_f16_e32 v72, v22, v20
	v_fma_f16 v70, v59, s6, v70
	v_add_f16_e32 v68, v25, v15
	v_add_f16_e32 v63, v63, v72
	v_fma_f16 v70, v58, s7, v70
	v_add_f16_e32 v68, v68, v17
	v_fma_f16 v61, v63, s18, v61
	v_fma_f16 v63, v63, s18, v70
	v_add_f16_e32 v70, v15, v22
	v_add_f16_e32 v68, v68, v20
	v_fma_f16 v25, v70, -0.5, v25
	v_add_f16_e32 v68, v68, v22
	v_fma_f16 v70, v58, s6, v25
	v_sub_f16_e32 v15, v17, v15
	v_sub_f16_e32 v17, v20, v22
	v_add_f16_e32 v22, v60, v62
	v_fma_f16 v70, v59, s20, v70
	v_add_f16_e32 v15, v15, v17
	v_fma_f16 v20, v58, s19, v25
	v_fma_f16 v22, v22, -0.5, v66
	v_sub_f16_e32 v25, v16, v23
	v_fma_f16 v17, v15, s18, v70
	v_fma_f16 v20, v59, s7, v20
	v_fma_f16 v58, v25, s6, v22
	v_sub_f16_e32 v59, v18, v21
	v_sub_f16_e32 v70, v56, v60
	;; [unrolled: 1-line block ×3, first 2 shown]
	v_fma_f16 v22, v25, s19, v22
	v_fma_f16 v58, v59, s7, v58
	v_add_f16_e32 v70, v70, v72
	v_fma_f16 v22, v59, s20, v22
	v_fma_f16 v58, v70, s18, v58
	;; [unrolled: 1-line block ×3, first 2 shown]
	v_add_f16_e32 v70, v56, v64
	v_fma_f16 v15, v15, s18, v20
	v_add_f16_e32 v20, v66, v56
	v_fma_f16 v66, v70, -0.5, v66
	v_add_f16_e32 v20, v20, v60
	v_fma_f16 v70, v59, s19, v66
	v_fma_f16 v59, v59, s6, v66
	v_add_f16_e32 v66, v18, v21
	v_add_f16_e32 v20, v20, v62
	v_sub_f16_e32 v72, v60, v56
	v_sub_f16_e32 v73, v62, v64
	v_fma_f16 v66, v66, -0.5, v11
	v_sub_f16_e32 v56, v56, v64
	v_add_f16_e32 v20, v20, v64
	v_fma_f16 v70, v25, s7, v70
	v_add_f16_e32 v72, v72, v73
	v_fma_f16 v25, v25, s20, v59
	v_fma_f16 v64, v56, s19, v66
	v_sub_f16_e32 v60, v60, v62
	v_fma_f16 v70, v72, s18, v70
	v_fma_f16 v25, v72, s18, v25
	;; [unrolled: 1-line block ×3, first 2 shown]
	v_sub_f16_e32 v64, v16, v18
	v_sub_f16_e32 v72, v23, v21
	v_fma_f16 v66, v56, s6, v66
	v_add_f16_e32 v64, v64, v72
	v_fma_f16 v66, v60, s7, v66
	v_fma_f16 v62, v64, s18, v62
	;; [unrolled: 1-line block ×3, first 2 shown]
	v_add_f16_e32 v66, v16, v23
	v_add_f16_e32 v59, v11, v16
	v_fma_f16 v11, v66, -0.5, v11
	v_add_f16_e32 v59, v59, v18
	v_fma_f16 v66, v60, s6, v11
	v_sub_f16_e32 v16, v18, v16
	v_sub_f16_e32 v18, v21, v23
	v_fma_f16 v11, v60, s19, v11
	v_add_f16_e32 v59, v59, v21
	v_fma_f16 v66, v56, s20, v66
	v_add_f16_e32 v16, v16, v18
	v_fma_f16 v11, v56, s7, v11
	v_mul_f16_e32 v21, 0x38b4, v62
	v_fma_f16 v18, v16, s18, v66
	v_fma_f16 v11, v16, s18, v11
	;; [unrolled: 1-line block ×3, first 2 shown]
	v_mul_f16_e32 v66, 0x34f2, v25
	v_mul_f16_e32 v58, 0xb8b4, v58
	v_add_f16_e32 v59, v59, v23
	v_mul_f16_e32 v56, 0x3b9c, v18
	v_fma_f16 v66, v11, s6, -v66
	v_fma_f16 v62, v62, s21, v58
	v_mul_f16_e32 v58, 0xbb9c, v70
	v_mul_f16_e32 v11, 0x34f2, v11
	v_add_f16_e32 v16, v65, v20
	v_add_f16_e32 v23, v69, v21
	v_fma_f16 v56, v70, s18, v56
	v_mul_f16_e32 v73, 0x3a79, v22
	v_add_f16_e32 v75, v68, v59
	v_add_f16_e32 v76, v61, v62
	v_fma_f16 v18, v18, s18, v58
	v_fma_f16 v11, v25, s19, -v11
	v_mul_f16_e32 v58, 0x3a79, v64
	v_add_f16_e32 v60, v71, v56
	v_add_f16_e32 v72, v10, v66
	v_fma_f16 v73, v64, s7, -v73
	v_add_f16_e32 v70, v17, v18
	v_add_f16_e32 v25, v15, v11
	v_fma_f16 v22, v22, s20, -v58
	v_sub_f16_e32 v20, v65, v20
	v_sub_f16_e32 v65, v71, v56
	;; [unrolled: 1-line block ×3, first 2 shown]
	v_add_lshl_u32 v56, v12, v24, 2
	v_pack_b32_f16 v12, v16, v75
	v_pack_b32_f16 v15, v23, v76
	v_add_f16_e32 v74, v67, v73
	v_add_f16_e32 v64, v63, v22
	v_sub_f16_e32 v10, v10, v66
	v_sub_f16_e32 v66, v68, v59
	ds_write2_b32 v56, v12, v15 offset1:52
	v_pack_b32_f16 v12, v60, v70
	v_pack_b32_f16 v15, v72, v25
	v_sub_f16_e32 v21, v69, v21
	v_sub_f16_e32 v58, v67, v73
	;; [unrolled: 1-line block ×5, first 2 shown]
	ds_write2_b32 v56, v12, v15 offset0:104 offset1:156
	v_pack_b32_f16 v12, v74, v64
	v_pack_b32_f16 v15, v20, v66
	v_add_u32_e32 v16, 0x200, v56
	ds_write2_b32 v16, v12, v15 offset0:80 offset1:132
	v_pack_b32_f16 v12, v21, v61
	v_pack_b32_f16 v15, v65, v17
	v_add_u32_e32 v16, 0x400, v56
	v_pack_b32_f16 v10, v10, v11
	v_pack_b32_f16 v11, v58, v59
	v_add_u32_e32 v60, 0x480, v31
	v_add_u32_e32 v74, 0x1000, v31
	;; [unrolled: 1-line block ×3, first 2 shown]
	ds_write2_b32 v16, v12, v15 offset0:56 offset1:108
	ds_write2_b32 v16, v10, v11 offset0:160 offset1:212
	s_waitcnt lgkmcnt(0)
	s_barrier
	ds_read2_b32 v[20:21], v31 offset1:156
	ds_read2_b32 v[24:25], v60 offset0:24 offset1:232
	ds_read2_b32 v[17:18], v74 offset0:16 offset1:172
	;; [unrolled: 1-line block ×3, first 2 shown]
	ds_read_b32 v61, v31 offset:5408
	v_addc_co_u32_e64 v10, s[2:3], 0, 0, s[2:3]
	v_addc_co_u32_e64 v62, s[2:3], 0, 0, s[4:5]
	v_cmp_gt_u16_e64 s[2:3], 52, v30
	s_and_saveexec_b64 s[4:5], s[2:3]
	s_cbranch_execz .LBB0_9
; %bb.8:
	ds_read_b32 v58, v31 offset:1872
	ds_read_b32 v26, v31 offset:3952
	;; [unrolled: 1-line block ×3, first 2 shown]
	s_waitcnt lgkmcnt(2)
	v_lshrrev_b32_e32 v59, 16, v58
	s_waitcnt lgkmcnt(1)
	v_lshrrev_b32_e32 v28, 16, v26
	;; [unrolled: 2-line block ×3, first 2 shown]
.LBB0_9:
	s_or_b64 exec, exec, s[4:5]
	v_lshlrev_b64 v[13:14], 3, v[13:14]
	v_mov_b32_e32 v63, s17
	v_add_co_u32_e32 v13, vcc, s16, v13
	v_lshlrev_b64 v[9:10], 3, v[9:10]
	v_addc_co_u32_e32 v14, vcc, v63, v14, vcc
	v_add_co_u32_e32 v9, vcc, s16, v9
	v_lshlrev_b32_e32 v11, 3, v30
	v_addc_co_u32_e32 v10, vcc, v63, v10, vcc
	s_movk_i32 s4, 0xffcc
	global_load_dwordx2 v[11:12], v11, s[16:17] offset:2028
	s_waitcnt lgkmcnt(1)
	v_lshrrev_b32_e32 v64, 16, v22
	global_load_dwordx2 v[15:16], v[9:10], off offset:2028
	v_add_co_u32_e32 v9, vcc, s4, v30
	global_load_dwordx2 v[13:14], v[13:14], off offset:2028
	v_addc_co_u32_e64 v10, s[4:5], 0, -1, vcc
	v_cndmask_b32_e64 v10, v10, v62, s[2:3]
	v_cndmask_b32_e64 v9, v9, v19, s[2:3]
	v_lshlrev_b64 v[9:10], 3, v[9:10]
	v_lshrrev_b32_e32 v62, 16, v25
	v_add_co_u32_e32 v9, vcc, s16, v9
	v_addc_co_u32_e32 v10, vcc, v63, v10, vcc
	global_load_dwordx2 v[9:10], v[9:10], off offset:2028
	v_lshrrev_b32_e32 v63, 16, v17
	v_lshrrev_b32_e32 v19, 16, v20
	;; [unrolled: 1-line block ×4, first 2 shown]
	s_waitcnt lgkmcnt(0)
	v_lshrrev_b32_e32 v69, 16, v61
	s_movk_i32 s4, 0x3aee
	s_mov_b32 s5, 0xbaee
	v_lshrrev_b32_e32 v65, 16, v21
	v_lshrrev_b32_e32 v68, 16, v24
	s_waitcnt vmcnt(3)
	v_mul_f16_sdwa v71, v25, v11 dst_sel:DWORD dst_unused:UNUSED_PAD src0_sel:DWORD src1_sel:WORD_1
	v_mul_f16_sdwa v75, v17, v12 dst_sel:DWORD dst_unused:UNUSED_PAD src0_sel:DWORD src1_sel:WORD_1
	;; [unrolled: 1-line block ×4, first 2 shown]
	v_fma_f16 v62, v62, v11, v71
	v_fma_f16 v63, v63, v12, v75
	v_fma_f16 v25, v25, v11, -v70
	v_fma_f16 v17, v17, v12, -v72
	s_waitcnt vmcnt(1)
	v_mul_f16_sdwa v70, v64, v13 dst_sel:DWORD dst_unused:UNUSED_PAD src0_sel:DWORD src1_sel:WORD_1
	v_mul_f16_sdwa v72, v66, v14 dst_sel:DWORD dst_unused:UNUSED_PAD src0_sel:DWORD src1_sel:WORD_1
	v_sub_f16_e32 v82, v62, v63
	v_add_f16_e32 v83, v19, v62
	v_add_f16_e32 v62, v62, v63
	v_mul_f16_sdwa v71, v22, v13 dst_sel:DWORD dst_unused:UNUSED_PAD src0_sel:DWORD src1_sel:WORD_1
	v_mul_f16_sdwa v75, v18, v14 dst_sel:DWORD dst_unused:UNUSED_PAD src0_sel:DWORD src1_sel:WORD_1
	;; [unrolled: 1-line block ×5, first 2 shown]
	v_add_f16_e32 v80, v20, v25
	v_add_f16_e32 v81, v25, v17
	v_sub_f16_e32 v25, v25, v17
	v_fma_f16 v70, v22, v13, -v70
	v_fma_f16 v72, v18, v14, -v72
	v_fma_f16 v22, v62, -0.5, v19
	v_mul_f16_sdwa v79, v61, v16 dst_sel:DWORD dst_unused:UNUSED_PAD src0_sel:DWORD src1_sel:WORD_1
	v_fma_f16 v71, v64, v13, v71
	v_fma_f16 v66, v66, v14, v75
	v_fma_f16 v75, v23, v15, -v76
	v_fma_f16 v76, v67, v15, v77
	v_fma_f16 v77, v61, v16, -v78
	v_add_f16_e32 v61, v83, v63
	v_fma_f16 v62, v25, s5, v22
	v_fma_f16 v63, v25, s4, v22
	v_add_f16_e32 v22, v70, v72
	s_waitcnt vmcnt(0)
	v_mul_f16_sdwa v23, v28, v9 dst_sel:DWORD dst_unused:UNUSED_PAD src0_sel:DWORD src1_sel:WORD_1
	v_fma_f16 v20, v81, -0.5, v20
	v_fma_f16 v78, v26, v9, -v23
	v_fma_f16 v22, v22, -0.5, v21
	v_sub_f16_e32 v23, v71, v66
	v_fma_f16 v18, v82, s4, v20
	v_fma_f16 v19, v82, s5, v20
	v_add_f16_e32 v20, v21, v70
	v_mul_f16_sdwa v64, v27, v10 dst_sel:DWORD dst_unused:UNUSED_PAD src0_sel:DWORD src1_sel:WORD_1
	v_fma_f16 v21, v23, s4, v22
	v_fma_f16 v22, v23, s5, v22
	v_add_f16_e32 v23, v65, v71
	v_mul_f16_sdwa v25, v26, v9 dst_sel:DWORD dst_unused:UNUSED_PAD src0_sel:DWORD src1_sel:WORD_1
	v_mul_f16_sdwa v67, v57, v10 dst_sel:DWORD dst_unused:UNUSED_PAD src0_sel:DWORD src1_sel:WORD_1
	v_fma_f16 v57, v57, v10, -v64
	v_add_f16_e32 v64, v23, v66
	v_add_f16_e32 v23, v71, v66
	v_fma_f16 v69, v69, v16, v79
	v_fma_f16 v79, v28, v9, v25
	v_fma_f16 v23, v23, -0.5, v65
	v_sub_f16_e32 v25, v70, v72
	v_fma_f16 v65, v25, s5, v23
	v_fma_f16 v66, v25, s4, v23
	v_add_f16_e32 v25, v75, v77
	v_fma_f16 v25, v25, -0.5, v24
	v_sub_f16_e32 v26, v76, v69
	v_add_f16_e32 v23, v24, v75
	v_fma_f16 v24, v26, s4, v25
	v_fma_f16 v25, v26, s5, v25
	v_add_f16_e32 v26, v68, v76
	v_add_f16_e32 v17, v80, v17
	v_fma_f16 v80, v27, v10, v67
	v_add_f16_e32 v67, v26, v69
	v_add_f16_e32 v26, v76, v69
	v_fma_f16 v26, v26, -0.5, v68
	v_sub_f16_e32 v27, v75, v77
	v_fma_f16 v68, v27, s5, v26
	v_fma_f16 v69, v27, s4, v26
	v_add_f16_e32 v27, v78, v57
	v_add_f16_e32 v26, v58, v78
	v_fma_f16 v28, v27, -0.5, v58
	v_sub_f16_e32 v58, v79, v80
	v_fma_f16 v27, v58, s4, v28
	v_fma_f16 v28, v58, s5, v28
	v_add_f16_e32 v58, v59, v79
	v_add_f16_e32 v70, v58, v80
	;; [unrolled: 1-line block ×5, first 2 shown]
	v_fma_f16 v58, v58, -0.5, v59
	v_sub_f16_e32 v57, v78, v57
	v_fma_f16 v71, v57, s5, v58
	v_fma_f16 v72, v57, s4, v58
	v_pack_b32_f16 v57, v17, v61
	v_pack_b32_f16 v75, v20, v64
	v_add_f16_e32 v23, v23, v77
	v_pack_b32_f16 v59, v19, v63
	ds_write2_b32 v31, v57, v75 offset1:156
	v_pack_b32_f16 v75, v22, v66
	v_pack_b32_f16 v58, v18, v62
	ds_write2_b32 v74, v59, v75 offset0:16 offset1:172
	v_pack_b32_f16 v59, v23, v67
	v_pack_b32_f16 v57, v21, v65
	ds_write2_b32 v60, v59, v58 offset0:24 offset1:232
	v_pack_b32_f16 v58, v24, v68
	ds_write2_b32 v73, v57, v58 offset0:36 offset1:192
	v_pack_b32_f16 v57, v25, v69
	ds_write_b32 v31, v57 offset:5408
	s_and_saveexec_b64 s[4:5], s[2:3]
	s_cbranch_execz .LBB0_11
; %bb.10:
	s_mov_b32 s6, 0x5040100
	v_perm_b32 v57, v70, v26, s6
	ds_write_b32 v31, v57 offset:1872
	v_perm_b32 v57, v71, v27, s6
	ds_write_b32 v31, v57 offset:3952
	;; [unrolled: 2-line block ×3, first 2 shown]
.LBB0_11:
	s_or_b64 exec, exec, s[4:5]
	s_waitcnt lgkmcnt(0)
	s_barrier
	s_and_saveexec_b64 s[4:5], s[0:1]
	s_cbranch_execz .LBB0_13
; %bb.12:
	v_mov_b32_e32 v57, s13
	v_add_co_u32_e32 v73, vcc, s12, v29
	v_addc_co_u32_e32 v74, vcc, 0, v57, vcc
	v_add_co_u32_e32 v57, vcc, 0x1860, v73
	v_addc_co_u32_e32 v58, vcc, 0, v74, vcc
	;; [unrolled: 2-line block ×3, first 2 shown]
	global_load_dword v75, v[59:60], off offset:2144
	global_load_dword v79, v[57:58], off offset:480
	;; [unrolled: 1-line block ×9, first 2 shown]
	s_movk_i32 s6, 0x2000
	v_add_co_u32_e32 v57, vcc, s6, v73
	v_addc_co_u32_e32 v58, vcc, 0, v74, vcc
	global_load_dword v87, v[57:58], off offset:2368
	global_load_dword v88, v[57:58], off offset:2848
	ds_read_b32 v59, v31
	global_load_dword v93, v[57:58], off offset:3328
	global_load_dword v94, v[57:58], off offset:3808
	v_add_u32_e32 v89, 0x400, v29
	v_add_u32_e32 v90, 0x800, v29
	v_add_u32_e32 v91, 0xc00, v29
	s_waitcnt lgkmcnt(0)
	v_lshrrev_b32_e32 v57, 16, v59
	v_add_u32_e32 v92, 0x1000, v29
	s_waitcnt vmcnt(12)
	v_mul_f16_sdwa v58, v57, v75 dst_sel:DWORD dst_unused:UNUSED_PAD src0_sel:DWORD src1_sel:WORD_1
	v_mul_f16_sdwa v60, v59, v75 dst_sel:DWORD dst_unused:UNUSED_PAD src0_sel:DWORD src1_sel:WORD_1
	v_fma_f16 v58, v59, v75, -v58
	v_fma_f16 v57, v57, v75, v60
	v_pack_b32_f16 v57, v58, v57
	ds_write_b32 v31, v57
	ds_read2_b32 v[57:58], v29 offset0:120 offset1:240
	ds_read2_b32 v[59:60], v89 offset0:104 offset1:224
	ds_read2_b32 v[73:74], v90 offset0:88 offset1:208
	ds_read2_b32 v[75:76], v91 offset0:72 offset1:192
	ds_read2_b32 v[77:78], v92 offset0:56 offset1:176
	s_waitcnt lgkmcnt(4)
	v_lshrrev_b32_e32 v95, 16, v57
	s_waitcnt vmcnt(11)
	v_mul_f16_sdwa v96, v57, v79 dst_sel:DWORD dst_unused:UNUSED_PAD src0_sel:DWORD src1_sel:WORD_1
	v_lshrrev_b32_e32 v97, 16, v58
	s_waitcnt vmcnt(10)
	v_mul_f16_sdwa v98, v58, v80 dst_sel:DWORD dst_unused:UNUSED_PAD src0_sel:DWORD src1_sel:WORD_1
	s_waitcnt lgkmcnt(3)
	v_lshrrev_b32_e32 v99, 16, v59
	s_waitcnt vmcnt(9)
	v_mul_f16_sdwa v100, v59, v81 dst_sel:DWORD dst_unused:UNUSED_PAD src0_sel:DWORD src1_sel:WORD_1
	v_lshrrev_b32_e32 v101, 16, v60
	s_waitcnt vmcnt(8)
	v_mul_f16_sdwa v102, v60, v82 dst_sel:DWORD dst_unused:UNUSED_PAD src0_sel:DWORD src1_sel:WORD_1
	s_waitcnt lgkmcnt(2)
	v_lshrrev_b32_e32 v103, 16, v73
	s_waitcnt vmcnt(7)
	v_mul_f16_sdwa v104, v73, v83 dst_sel:DWORD dst_unused:UNUSED_PAD src0_sel:DWORD src1_sel:WORD_1
	v_lshrrev_b32_e32 v105, 16, v74
	v_mul_f16_sdwa v110, v95, v79 dst_sel:DWORD dst_unused:UNUSED_PAD src0_sel:DWORD src1_sel:WORD_1
	v_fma_f16 v95, v95, v79, v96
	v_mul_f16_sdwa v96, v97, v80 dst_sel:DWORD dst_unused:UNUSED_PAD src0_sel:DWORD src1_sel:WORD_1
	s_waitcnt vmcnt(6)
	v_mul_f16_sdwa v106, v74, v84 dst_sel:DWORD dst_unused:UNUSED_PAD src0_sel:DWORD src1_sel:WORD_1
	v_fma_f16 v97, v97, v80, v98
	v_mul_f16_sdwa v98, v99, v81 dst_sel:DWORD dst_unused:UNUSED_PAD src0_sel:DWORD src1_sel:WORD_1
	v_fma_f16 v99, v99, v81, v100
	;; [unrolled: 2-line block ×4, first 2 shown]
	v_mul_f16_sdwa v104, v105, v84 dst_sel:DWORD dst_unused:UNUSED_PAD src0_sel:DWORD src1_sel:WORD_1
	v_fma_f16 v57, v57, v79, -v110
	v_fma_f16 v58, v58, v80, -v96
	s_waitcnt lgkmcnt(1)
	v_lshrrev_b32_e32 v107, 16, v75
	s_waitcnt vmcnt(5)
	v_mul_f16_sdwa v108, v75, v85 dst_sel:DWORD dst_unused:UNUSED_PAD src0_sel:DWORD src1_sel:WORD_1
	v_lshrrev_b32_e32 v109, 16, v76
	v_fma_f16 v105, v105, v84, v106
	v_fma_f16 v59, v59, v81, -v98
	v_fma_f16 v60, v60, v82, -v100
	;; [unrolled: 1-line block ×4, first 2 shown]
	v_pack_b32_f16 v57, v57, v95
	v_pack_b32_f16 v58, v58, v97
	v_mul_f16_sdwa v106, v107, v85 dst_sel:DWORD dst_unused:UNUSED_PAD src0_sel:DWORD src1_sel:WORD_1
	v_fma_f16 v107, v107, v85, v108
	s_waitcnt vmcnt(4)
	v_mul_f16_sdwa v108, v109, v86 dst_sel:DWORD dst_unused:UNUSED_PAD src0_sel:DWORD src1_sel:WORD_1
	v_pack_b32_f16 v59, v59, v99
	v_pack_b32_f16 v60, v60, v101
	;; [unrolled: 1-line block ×4, first 2 shown]
	ds_write2_b32 v29, v57, v58 offset0:120 offset1:240
	ds_write2_b32 v89, v59, v60 offset0:104 offset1:224
	;; [unrolled: 1-line block ×3, first 2 shown]
	v_mul_f16_sdwa v57, v76, v86 dst_sel:DWORD dst_unused:UNUSED_PAD src0_sel:DWORD src1_sel:WORD_1
	v_fma_f16 v75, v75, v85, -v106
	v_fma_f16 v79, v76, v86, -v108
	v_fma_f16 v57, v109, v86, v57
	v_pack_b32_f16 v75, v75, v107
	v_pack_b32_f16 v57, v79, v57
	ds_write2_b32 v91, v75, v57 offset0:72 offset1:192
	s_waitcnt lgkmcnt(4)
	v_lshrrev_b32_e32 v57, 16, v77
	s_waitcnt vmcnt(3)
	v_mul_f16_sdwa v58, v57, v87 dst_sel:DWORD dst_unused:UNUSED_PAD src0_sel:DWORD src1_sel:WORD_1
	v_mul_f16_sdwa v59, v77, v87 dst_sel:DWORD dst_unused:UNUSED_PAD src0_sel:DWORD src1_sel:WORD_1
	v_fma_f16 v58, v77, v87, -v58
	v_fma_f16 v57, v57, v87, v59
	v_lshrrev_b32_e32 v60, 16, v78
	v_pack_b32_f16 v59, v58, v57
	s_waitcnt vmcnt(2)
	v_mul_f16_sdwa v57, v60, v88 dst_sel:DWORD dst_unused:UNUSED_PAD src0_sel:DWORD src1_sel:WORD_1
	v_add_u32_e32 v74, 0x1400, v29
	v_fma_f16 v73, v78, v88, -v57
	ds_read2_b32 v[57:58], v74 offset0:40 offset1:160
	v_mul_f16_sdwa v75, v78, v88 dst_sel:DWORD dst_unused:UNUSED_PAD src0_sel:DWORD src1_sel:WORD_1
	v_fma_f16 v60, v60, v88, v75
	v_pack_b32_f16 v60, v73, v60
	ds_write2_b32 v92, v59, v60 offset0:56 offset1:176
	s_waitcnt lgkmcnt(1)
	v_lshrrev_b32_e32 v59, 16, v57
	s_waitcnt vmcnt(1)
	v_mul_f16_sdwa v60, v59, v93 dst_sel:DWORD dst_unused:UNUSED_PAD src0_sel:DWORD src1_sel:WORD_1
	v_fma_f16 v60, v57, v93, -v60
	v_mul_f16_sdwa v57, v57, v93 dst_sel:DWORD dst_unused:UNUSED_PAD src0_sel:DWORD src1_sel:WORD_1
	v_fma_f16 v57, v59, v93, v57
	v_lshrrev_b32_e32 v59, 16, v58
	v_pack_b32_f16 v57, v60, v57
	s_waitcnt vmcnt(0)
	v_mul_f16_sdwa v60, v59, v94 dst_sel:DWORD dst_unused:UNUSED_PAD src0_sel:DWORD src1_sel:WORD_1
	v_fma_f16 v60, v58, v94, -v60
	v_mul_f16_sdwa v58, v58, v94 dst_sel:DWORD dst_unused:UNUSED_PAD src0_sel:DWORD src1_sel:WORD_1
	v_fma_f16 v58, v59, v94, v58
	v_pack_b32_f16 v58, v60, v58
	ds_write2_b32 v74, v57, v58 offset0:40 offset1:160
.LBB0_13:
	s_or_b64 exec, exec, s[4:5]
	s_waitcnt lgkmcnt(0)
	s_barrier
	s_and_saveexec_b64 s[4:5], s[0:1]
	s_cbranch_execz .LBB0_15
; %bb.14:
	v_add_u32_e32 v19, 0x200, v31
	v_add_u32_e32 v21, 0x600, v31
	;; [unrolled: 1-line block ×5, first 2 shown]
	ds_read2_b32 v[17:18], v31 offset1:120
	ds_read2_b32 v[19:20], v19 offset0:112 offset1:232
	ds_read2_b32 v[21:22], v21 offset0:96 offset1:216
	;; [unrolled: 1-line block ×5, first 2 shown]
	ds_read_b32 v33, v31 offset:5760
	s_waitcnt lgkmcnt(6)
	v_lshrrev_b32_e32 v61, 16, v17
	v_lshrrev_b32_e32 v62, 16, v18
	s_waitcnt lgkmcnt(5)
	v_lshrrev_b32_e32 v63, 16, v19
	v_lshrrev_b32_e32 v64, 16, v20
	;; [unrolled: 3-line block ×6, first 2 shown]
	s_waitcnt lgkmcnt(0)
	v_lshrrev_b32_e32 v34, 16, v33
.LBB0_15:
	s_or_b64 exec, exec, s[4:5]
	v_sub_f16_e32 v80, v62, v34
	v_add_f16_e32 v73, v33, v18
	v_add_f16_e32 v83, v34, v62
	s_movk_i32 s6, 0x388b
	v_mul_f16_e32 v87, 0xba95, v80
	v_sub_f16_e32 v84, v63, v72
	v_sub_f16_e32 v74, v18, v33
	s_mov_b32 s16, 0xba95
	v_mul_f16_e32 v91, 0x388b, v83
	v_fma_f16 v57, v73, s6, -v87
	v_add_f16_e32 v75, v28, v19
	v_add_f16_e32 v88, v72, v63
	s_mov_b32 s17, 0xb5ac
	v_mul_f16_e32 v94, 0xbb7b, v84
	v_add_f16_e32 v57, v17, v57
	v_fma_f16 v58, v74, s16, v91
	s_movk_i32 s7, 0x2fb7
	v_mul_f16_e32 v98, 0xbbf1, v80
	v_sub_f16_e32 v76, v19, v28
	s_mov_b32 s20, 0xbb7b
	v_mul_f16_e32 v95, 0xb5ac, v88
	v_fma_f16 v77, v75, s17, -v94
	v_add_f16_e32 v58, v61, v58
	s_mov_b32 s18, 0xbbf1
	v_mul_f16_e32 v100, 0x2fb7, v83
	v_fma_f16 v59, v73, s7, -v98
	v_add_f16_e32 v57, v77, v57
	v_fma_f16 v77, v76, s20, v95
	s_mov_b32 s19, 0xbbc4
	v_mul_f16_e32 v104, 0xb3a8, v84
	v_add_f16_e32 v59, v17, v59
	v_fma_f16 v60, v74, s18, v100
	v_add_f16_e32 v58, v77, v58
	s_mov_b32 s21, 0xb3a8
	v_mul_f16_e32 v107, 0xbbc4, v88
	v_fma_f16 v77, v75, s19, -v104
	v_add_f16_e32 v60, v61, v60
	v_add_f16_e32 v59, v77, v59
	v_fma_f16 v77, v76, s21, v107
	v_sub_f16_e32 v89, v64, v71
	v_add_f16_e32 v60, v77, v60
	v_add_f16_e32 v77, v27, v20
	;; [unrolled: 1-line block ×3, first 2 shown]
	v_mul_f16_e32 v99, 0xb3a8, v89
	v_sub_f16_e32 v78, v20, v27
	v_mul_f16_e32 v102, 0xbbc4, v93
	v_fma_f16 v79, v77, s19, -v99
	v_add_f16_e32 v57, v79, v57
	v_fma_f16 v79, v78, s21, v102
	v_mul_f16_e32 v109, 0x3b7b, v89
	v_add_f16_e32 v58, v79, v58
	s_movk_i32 s25, 0x3b7b
	v_mul_f16_e32 v111, 0xb5ac, v93
	v_fma_f16 v79, v77, s17, -v109
	v_add_f16_e32 v59, v79, v59
	v_fma_f16 v79, v78, s25, v111
	v_sub_f16_e32 v92, v65, v70
	v_add_f16_e32 v60, v79, v60
	v_add_f16_e32 v79, v26, v21
	v_add_f16_e32 v96, v70, v65
	s_mov_b32 s22, 0xb9fd
	v_mul_f16_e32 v105, 0x394e, v92
	v_sub_f16_e32 v81, v21, v26
	s_movk_i32 s26, 0x394e
	v_mul_f16_e32 v108, 0xb9fd, v96
	v_fma_f16 v82, v79, s22, -v105
	v_add_f16_e32 v57, v82, v57
	v_fma_f16 v82, v81, s26, v108
	s_movk_i32 s23, 0x3b15
	v_mul_f16_e32 v114, 0x3770, v92
	v_add_f16_e32 v58, v82, v58
	s_movk_i32 s27, 0x3770
	v_mul_f16_e32 v116, 0x3b15, v96
	v_fma_f16 v82, v79, s23, -v114
	v_add_f16_e32 v59, v82, v59
	v_fma_f16 v82, v81, s27, v116
	v_sub_f16_e32 v97, v66, v69
	v_add_f16_e32 v60, v82, v60
	v_add_f16_e32 v82, v25, v22
	v_add_f16_e32 v103, v69, v66
	v_mul_f16_e32 v110, 0x3bf1, v97
	v_sub_f16_e32 v85, v22, v25
	s_movk_i32 s28, 0x3bf1
	v_mul_f16_e32 v112, 0x2fb7, v103
	v_fma_f16 v86, v82, s7, -v110
	v_add_f16_e32 v57, v86, v57
	v_fma_f16 v86, v85, s28, v112
	v_mul_f16_e32 v117, 0xba95, v97
	v_add_f16_e32 v58, v86, v58
	v_mul_f16_e32 v118, 0x388b, v103
	v_fma_f16 v86, v82, s6, -v117
	v_sub_f16_e32 v101, v67, v68
	v_add_f16_e32 v121, v86, v59
	v_fma_f16 v59, v85, s16, v118
	v_add_f16_e32 v86, v24, v23
	v_add_f16_e32 v106, v68, v67
	v_mul_f16_e32 v113, 0x3770, v101
	v_add_f16_e32 v60, v59, v60
	v_sub_f16_e32 v90, v23, v24
	v_mul_f16_e32 v115, 0x3b15, v106
	v_fma_f16 v59, v86, s23, -v113
	v_add_f16_e32 v57, v59, v57
	v_fma_f16 v59, v90, s27, v115
	v_mul_f16_e32 v119, 0xb94e, v101
	v_add_f16_e32 v59, v59, v58
	s_mov_b32 s24, 0xb94e
	v_mul_f16_e32 v120, 0xb9fd, v106
	v_fma_f16 v58, v86, s22, -v119
	v_add_f16_e32 v58, v58, v121
	v_fma_f16 v121, v90, s24, v120
	v_add_f16_e32 v60, v121, v60
	s_barrier
	s_and_saveexec_b64 s[4:5], s[0:1]
	s_cbranch_execz .LBB0_17
; %bb.16:
	v_mul_f16_e32 v121, 0xbb7b, v74
	v_fma_f16 v122, v83, s17, v121
	v_mul_f16_e32 v123, 0x394e, v76
	v_add_f16_e32 v122, v61, v122
	v_fma_f16 v124, v88, s22, v123
	v_add_f16_e32 v122, v124, v122
	v_mul_f16_e32 v124, 0x3770, v78
	v_fma_f16 v125, v93, s23, v124
	v_add_f16_e32 v122, v125, v122
	v_mul_f16_e32 v125, 0xbbf1, v81
	;; [unrolled: 3-line block ×5, first 2 shown]
	v_fma_f16 v129, v73, s17, -v128
	v_mul_f16_e32 v130, 0x394e, v84
	v_add_f16_e32 v129, v17, v129
	v_fma_f16 v131, v75, s22, -v130
	v_add_f16_e32 v129, v131, v129
	v_mul_f16_e32 v131, 0x3770, v89
	v_fma_f16 v132, v77, s23, -v131
	v_add_f16_e32 v129, v132, v129
	v_mul_f16_e32 v132, 0xbbf1, v92
	v_fma_f16 v133, v79, s7, -v132
	v_add_f16_e32 v129, v133, v129
	v_mul_f16_e32 v133, 0x33a8, v97
	v_fma_f16 v134, v82, s19, -v133
	v_add_f16_e32 v129, v134, v129
	v_mul_f16_e32 v134, 0x3a95, v101
	v_fma_f16 v135, v86, s6, -v134
	v_add_f16_e32 v129, v135, v129
	v_mul_f16_e32 v135, 0xb94e, v74
	v_fma_f16 v136, v83, s22, v135
	v_mul_f16_e32 v137, 0x3bf1, v76
	v_add_f16_e32 v136, v61, v136
	v_fma_f16 v138, v88, s7, v137
	v_add_f16_e32 v136, v138, v136
	v_mul_f16_e32 v138, 0xba95, v78
	v_fma_f16 v139, v93, s6, v138
	v_add_f16_e32 v136, v139, v136
	v_mul_f16_e32 v139, 0x33a8, v81
	;; [unrolled: 3-line block ×5, first 2 shown]
	v_fma_f16 v143, v73, s22, -v142
	v_mul_f16_e32 v144, 0x3bf1, v84
	v_add_f16_e32 v143, v17, v143
	v_fma_f16 v145, v75, s7, -v144
	v_add_f16_e32 v143, v145, v143
	v_mul_f16_e32 v145, 0xba95, v89
	v_fma_f16 v146, v77, s6, -v145
	v_add_f16_e32 v143, v146, v143
	v_mul_f16_e32 v146, 0x33a8, v92
	;; [unrolled: 3-line block ×5, first 2 shown]
	v_fma_f16 v150, v83, s19, v149
	v_mul_f16_e32 v151, 0x3770, v76
	v_add_f16_e32 v150, v61, v150
	v_fma_f16 v152, v88, s23, v151
	v_add_f16_e32 v150, v152, v150
	v_mul_f16_e32 v152, 0xb94e, v78
	v_fma_f16 v153, v93, s22, v152
	v_add_f16_e32 v150, v153, v150
	v_mul_f16_e32 v153, 0x3a95, v81
	;; [unrolled: 3-line block ×5, first 2 shown]
	v_fma_f16 v157, v73, s19, -v156
	v_mul_f16_e32 v158, 0x3770, v84
	v_add_f16_e32 v157, v17, v157
	v_fma_f16 v159, v75, s23, -v158
	v_add_f16_e32 v157, v159, v157
	v_mul_f16_e32 v159, 0xb94e, v89
	v_fma_f16 v149, v83, s19, -v149
	v_fma_f16 v160, v77, s22, -v159
	v_add_f16_e32 v149, v61, v149
	v_fma_f16 v151, v88, s23, -v151
	v_add_f16_e32 v157, v160, v157
	v_mul_f16_e32 v160, 0x3a95, v92
	v_add_f16_e32 v149, v151, v149
	v_fma_f16 v151, v93, s22, -v152
	v_fma_f16 v152, v73, s19, v156
	v_fma_f16 v161, v79, s6, -v160
	v_add_f16_e32 v149, v151, v149
	v_fma_f16 v151, v96, s6, -v153
	v_add_f16_e32 v152, v17, v152
	v_fma_f16 v153, v75, s23, v158
	v_add_f16_e32 v157, v161, v157
	v_mul_f16_e32 v161, 0xbb7b, v97
	v_add_f16_e32 v149, v151, v149
	v_fma_f16 v151, v103, s17, -v154
	v_add_f16_e32 v152, v153, v152
	v_fma_f16 v154, v77, s22, v159
	v_fma_f16 v135, v83, s22, -v135
	v_fma_f16 v162, v82, s17, -v161
	v_add_f16_e32 v149, v151, v149
	v_fma_f16 v151, v106, s7, -v155
	v_add_f16_e32 v152, v154, v152
	v_fma_f16 v155, v79, s6, v160
	v_add_f16_e32 v135, v61, v135
	v_fma_f16 v137, v88, s7, -v137
	v_fma_f16 v121, v83, s17, -v121
	v_add_f16_e32 v157, v162, v157
	v_mul_f16_e32 v162, 0x3bf1, v101
	v_add_f16_e32 v149, v151, v149
	v_mul_f16_e32 v151, 0x388b, v73
	v_add_f16_e32 v152, v155, v152
	v_fma_f16 v156, v82, s17, v161
	v_add_f16_e32 v135, v137, v135
	v_fma_f16 v138, v93, s6, -v138
	v_fma_f16 v142, v73, s22, v142
	v_add_f16_e32 v121, v61, v121
	v_fma_f16 v123, v88, s22, -v123
	v_mul_f16_e32 v153, 0xba95, v74
	v_add_f16_e32 v152, v156, v152
	v_mul_f16_e32 v156, 0xb5ac, v75
	v_fma_f16 v158, v86, s7, v162
	v_add_f16_e32 v135, v138, v135
	v_fma_f16 v139, v96, s19, -v139
	v_add_f16_e32 v142, v17, v142
	v_fma_f16 v144, v75, s7, v144
	v_add_f16_e32 v121, v123, v121
	v_fma_f16 v124, v93, s23, -v124
	v_add_f16_e32 v87, v151, v87
	v_add_f16_e32 v152, v158, v152
	v_mul_f16_e32 v158, 0xbb7b, v76
	v_add_f16_e32 v135, v139, v135
	v_mul_f16_e32 v139, 0xbbc4, v77
	v_fma_f16 v140, v103, s23, -v140
	v_add_f16_e32 v142, v144, v142
	v_fma_f16 v145, v77, s6, v145
	v_add_f16_e32 v121, v124, v121
	v_fma_f16 v125, v96, s7, -v125
	v_sub_f16_e32 v91, v91, v153
	v_add_f16_e32 v87, v17, v87
	v_add_f16_e32 v94, v156, v94
	;; [unrolled: 1-line block ×3, first 2 shown]
	v_mul_f16_e32 v140, 0xb3a8, v78
	v_add_f16_e32 v142, v145, v142
	v_mul_f16_e32 v145, 0xb9fd, v79
	v_fma_f16 v146, v79, s19, v146
	v_add_f16_e32 v121, v125, v121
	v_fma_f16 v126, v103, s19, -v126
	v_add_f16_e32 v91, v61, v91
	v_sub_f16_e32 v95, v95, v158
	v_add_f16_e32 v87, v94, v87
	v_add_f16_e32 v94, v139, v99
	;; [unrolled: 1-line block ×3, first 2 shown]
	v_mul_f16_e32 v146, 0x394e, v81
	v_mul_f16_e32 v123, 0x2fb7, v82
	v_add_f16_e32 v121, v126, v121
	v_fma_f16 v127, v106, s6, -v127
	v_fma_f16 v128, v73, s17, v128
	v_add_f16_e32 v91, v95, v91
	v_sub_f16_e32 v95, v102, v140
	v_add_f16_e32 v87, v94, v87
	v_add_f16_e32 v94, v145, v105
	v_mul_f16_e32 v124, 0x3bf1, v85
	v_add_f16_e32 v121, v127, v121
	v_mul_f16_e32 v127, 0x3b15, v86
	v_add_f16_e32 v128, v17, v128
	v_fma_f16 v130, v75, s22, v130
	v_add_f16_e32 v91, v95, v91
	v_sub_f16_e32 v95, v108, v146
	v_add_f16_e32 v87, v94, v87
	v_add_f16_e32 v94, v123, v110
	;; [unrolled: 1-line block ×3, first 2 shown]
	v_mul_f16_e32 v130, 0x3770, v90
	v_add_f16_e32 v91, v95, v91
	v_sub_f16_e32 v95, v112, v124
	v_add_f16_e32 v87, v94, v87
	v_add_f16_e32 v94, v127, v113
	v_mul_f16_e32 v83, 0x3b15, v83
	s_movk_i32 s30, 0x3a95
	v_add_f16_e32 v91, v95, v91
	v_sub_f16_e32 v95, v115, v130
	v_add_f16_e32 v87, v94, v87
	v_fma_f16 v94, v74, s27, v83
	v_mul_f16_e32 v88, 0x388b, v88
	v_add_f16_e32 v91, v95, v91
	v_add_f16_e32 v94, v61, v94
	v_fma_f16 v95, v76, s30, v88
	v_mul_f16_e32 v93, 0x2fb7, v93
	v_add_f16_e32 v94, v95, v94
	v_fma_f16 v95, v78, s28, v93
	v_add_f16_e32 v94, v95, v94
	v_mul_f16_e32 v95, 0xb5ac, v96
	v_add_f16_e32 v18, v18, v17
	v_fma_f16 v96, v81, s25, v95
	s_mov_b32 s25, 0xb770
	v_add_f16_e32 v18, v19, v18
	v_add_f16_e32 v18, v20, v18
	;; [unrolled: 1-line block ×3, first 2 shown]
	v_fma_f16 v20, v74, s25, v83
	v_add_f16_e32 v94, v96, v94
	v_mul_f16_e32 v96, 0xb9fd, v103
	v_add_f16_e32 v18, v21, v18
	v_add_f16_e32 v19, v63, v19
	;; [unrolled: 1-line block ×3, first 2 shown]
	v_fma_f16 v21, v76, s16, v88
	v_fma_f16 v99, v85, s26, v96
	v_add_f16_e32 v19, v64, v19
	v_add_f16_e32 v20, v21, v20
	v_fma_f16 v21, v78, s18, v93
	s_movk_i32 s29, 0x33a8
	v_add_f16_e32 v94, v99, v94
	v_mul_f16_e32 v99, 0xbbc4, v106
	v_add_f16_e32 v19, v65, v19
	v_add_f16_e32 v20, v21, v20
	v_fma_f16 v21, v81, s20, v95
	v_fma_f16 v102, v90, s29, v99
	v_mul_f16_e32 v80, 0xb770, v80
	v_add_f16_e32 v18, v22, v18
	v_add_f16_e32 v19, v66, v19
	;; [unrolled: 1-line block ×3, first 2 shown]
	v_fma_f16 v21, v85, s24, v96
	v_mul_f16_e32 v154, 0x2fb7, v73
	v_mul_f16_e32 v155, 0xbbf1, v74
	v_add_f16_e32 v94, v102, v94
	v_fma_f16 v102, v73, s23, v80
	v_mul_f16_e32 v84, 0xba95, v84
	v_add_f16_e32 v18, v23, v18
	v_add_f16_e32 v19, v67, v19
	;; [unrolled: 1-line block ×3, first 2 shown]
	v_fma_f16 v21, v90, s21, v99
	v_mul_f16_e32 v137, 0xbbc4, v75
	v_mul_f16_e32 v138, 0xb3a8, v76
	v_fma_f16 v141, v106, s17, -v141
	v_fma_f16 v147, v82, s23, v147
	v_sub_f16_e32 v100, v100, v155
	v_add_f16_e32 v98, v154, v98
	v_add_f16_e32 v102, v17, v102
	v_fma_f16 v103, v75, s6, v84
	v_mul_f16_e32 v89, 0xbbf1, v89
	v_add_f16_e32 v18, v24, v18
	v_add_f16_e32 v19, v68, v19
	;; [unrolled: 1-line block ×3, first 2 shown]
	v_fma_f16 v21, v73, s23, -v80
	v_add_f16_e32 v135, v141, v135
	v_mul_f16_e32 v141, 0xb5ac, v77
	v_mul_f16_e32 v144, 0x3b7b, v78
	v_add_f16_e32 v142, v147, v142
	v_fma_f16 v148, v86, s17, v148
	v_add_f16_e32 v100, v61, v100
	v_sub_f16_e32 v107, v107, v138
	v_add_f16_e32 v98, v17, v98
	v_add_f16_e32 v104, v137, v104
	;; [unrolled: 1-line block ×3, first 2 shown]
	v_fma_f16 v103, v77, s7, v89
	v_mul_f16_e32 v92, 0xbb7b, v92
	v_add_f16_e32 v18, v25, v18
	v_add_f16_e32 v19, v69, v19
	;; [unrolled: 1-line block ×3, first 2 shown]
	v_fma_f16 v21, v75, s6, -v84
	v_mul_f16_e32 v147, 0x3b15, v79
	v_add_f16_e32 v142, v148, v142
	v_mul_f16_e32 v148, 0x3770, v81
	v_fma_f16 v131, v77, s23, v131
	v_add_f16_e32 v100, v107, v100
	v_sub_f16_e32 v107, v111, v144
	v_add_f16_e32 v98, v104, v98
	v_add_f16_e32 v104, v141, v109
	;; [unrolled: 1-line block ×3, first 2 shown]
	v_fma_f16 v103, v79, s17, v92
	v_mul_f16_e32 v97, 0xb94e, v97
	v_add_f16_e32 v18, v26, v18
	v_add_f16_e32 v19, v70, v19
	;; [unrolled: 1-line block ×3, first 2 shown]
	v_fma_f16 v21, v77, s7, -v89
	v_mul_f16_e32 v125, 0x388b, v82
	v_mul_f16_e32 v126, 0xba95, v85
	v_add_f16_e32 v128, v131, v128
	v_fma_f16 v132, v79, s7, v132
	v_add_f16_e32 v100, v107, v100
	v_sub_f16_e32 v107, v116, v148
	v_add_f16_e32 v98, v104, v98
	v_add_f16_e32 v104, v147, v114
	;; [unrolled: 1-line block ×3, first 2 shown]
	v_fma_f16 v103, v82, s22, v97
	v_mul_f16_e32 v101, 0xb3a8, v101
	v_add_f16_e32 v18, v27, v18
	v_add_f16_e32 v19, v71, v19
	;; [unrolled: 1-line block ×3, first 2 shown]
	v_fma_f16 v21, v79, s17, -v92
	v_mul_f16_e32 v131, 0xb9fd, v86
	v_add_f16_e32 v128, v132, v128
	v_mul_f16_e32 v132, 0xb94e, v90
	v_add_f16_e32 v100, v107, v100
	v_sub_f16_e32 v107, v118, v126
	v_add_f16_e32 v98, v104, v98
	v_add_f16_e32 v104, v125, v117
	;; [unrolled: 1-line block ×3, first 2 shown]
	v_fma_f16 v103, v86, s19, v101
	v_add_f16_e32 v18, v28, v18
	v_add_f16_e32 v19, v72, v19
	;; [unrolled: 1-line block ×3, first 2 shown]
	v_fma_f16 v21, v82, s22, -v97
	v_fma_f16 v133, v82, s19, v133
	v_add_f16_e32 v100, v107, v100
	v_sub_f16_e32 v107, v120, v132
	v_add_f16_e32 v98, v104, v98
	v_add_f16_e32 v104, v131, v119
	;; [unrolled: 1-line block ×6, first 2 shown]
	v_fma_f16 v21, v86, s19, -v101
	v_add_f16_e32 v128, v133, v128
	v_fma_f16 v133, v86, s6, v134
	v_add_f16_e32 v100, v107, v100
	v_add_f16_e32 v98, v104, v98
	;; [unrolled: 1-line block ×3, first 2 shown]
	v_lshlrev_b32_e32 v21, 2, v32
	v_pack_b32_f16 v22, v102, v94
	v_pack_b32_f16 v18, v18, v19
	v_fma_f16 v163, v86, s7, -v162
	v_add_f16_e32 v128, v133, v128
	ds_write2_b32 v21, v18, v22 offset1:1
	v_pack_b32_f16 v18, v98, v100
	v_pack_b32_f16 v19, v87, v91
	v_add_f16_e32 v157, v163, v157
	ds_write2_b32 v21, v19, v18 offset0:2 offset1:3
	v_pack_b32_f16 v18, v142, v135
	v_pack_b32_f16 v19, v128, v121
	ds_write2_b32 v21, v19, v18 offset0:4 offset1:5
	v_pack_b32_f16 v18, v157, v150
	v_pack_b32_f16 v19, v152, v149
	;; [unrolled: 3-line block ×3, first 2 shown]
	s_mov_b32 s6, 0x5040100
	ds_write2_b32 v21, v19, v18 offset0:8 offset1:9
	v_perm_b32 v18, v59, v57, s6
	v_perm_b32 v19, v60, v58, s6
	v_pack_b32_f16 v17, v17, v20
	ds_write2_b32 v21, v19, v18 offset0:10 offset1:11
	ds_write_b32 v21, v17 offset:48
.LBB0_17:
	s_or_b64 exec, exec, s[4:5]
	v_add_u32_e32 v27, 0x900, v31
	s_waitcnt lgkmcnt(0)
	s_barrier
	ds_read2_b32 v[19:20], v27 offset0:48 offset1:204
	v_add_u32_e32 v33, 0xe00, v31
	ds_read2_b32 v[21:22], v33 offset0:40 offset1:196
	v_add_u32_e32 v62, 0x1200, v31
	ds_read2_b32 v[25:26], v62 offset0:96 offset1:252
	s_waitcnt lgkmcnt(2)
	v_lshrrev_b32_e32 v32, 16, v20
	v_mul_f16_sdwa v70, v37, v32 dst_sel:DWORD dst_unused:UNUSED_PAD src0_sel:WORD_1 src1_sel:DWORD
	s_waitcnt lgkmcnt(1)
	v_lshrrev_b32_e32 v63, 16, v21
	v_fma_f16 v70, v37, v20, v70
	v_mul_f16_sdwa v20, v37, v20 dst_sel:DWORD dst_unused:UNUSED_PAD src0_sel:WORD_1 src1_sel:DWORD
	ds_read2_b32 v[17:18], v31 offset1:156
	v_fma_f16 v20, v37, v32, -v20
	v_mul_f16_sdwa v32, v36, v63 dst_sel:DWORD dst_unused:UNUSED_PAD src0_sel:WORD_1 src1_sel:DWORD
	v_add_u32_e32 v34, 0x400, v31
	v_lshrrev_b32_e32 v65, 16, v22
	v_fma_f16 v32, v36, v21, v32
	v_mul_f16_sdwa v21, v36, v21 dst_sel:DWORD dst_unused:UNUSED_PAD src0_sel:WORD_1 src1_sel:DWORD
	ds_read2_b32 v[23:24], v34 offset0:56 offset1:212
	v_fma_f16 v21, v36, v63, -v21
	v_mul_f16_sdwa v36, v35, v65 dst_sel:DWORD dst_unused:UNUSED_PAD src0_sel:WORD_1 src1_sel:DWORD
	s_waitcnt lgkmcnt(2)
	v_lshrrev_b32_e32 v67, 16, v25
	v_fma_f16 v36, v35, v22, v36
	v_mul_f16_sdwa v22, v35, v22 dst_sel:DWORD dst_unused:UNUSED_PAD src0_sel:WORD_1 src1_sel:DWORD
	v_fma_f16 v22, v35, v65, -v22
	v_mul_f16_sdwa v35, v38, v67 dst_sel:DWORD dst_unused:UNUSED_PAD src0_sel:WORD_1 src1_sel:DWORD
	s_waitcnt lgkmcnt(1)
	v_lshrrev_b32_e32 v28, 16, v17
	v_lshrrev_b32_e32 v69, 16, v26
	v_fma_f16 v35, v38, v25, v35
	v_mul_f16_sdwa v25, v38, v25 dst_sel:DWORD dst_unused:UNUSED_PAD src0_sel:WORD_1 src1_sel:DWORD
	v_lshrrev_b32_e32 v61, 16, v18
	v_fma_f16 v25, v38, v67, -v25
	v_mul_f16_sdwa v37, v39, v69 dst_sel:DWORD dst_unused:UNUSED_PAD src0_sel:WORD_1 src1_sel:DWORD
	v_sub_f16_e32 v38, v17, v70
	v_sub_f16_e32 v20, v28, v20
	s_waitcnt lgkmcnt(0)
	v_lshrrev_b32_e32 v64, 16, v23
	v_fma_f16 v37, v39, v26, v37
	v_mul_f16_sdwa v26, v39, v26 dst_sel:DWORD dst_unused:UNUSED_PAD src0_sel:WORD_1 src1_sel:DWORD
	v_fma_f16 v17, v17, 2.0, -v38
	v_fma_f16 v28, v28, 2.0, -v20
	v_sub_f16_e32 v32, v18, v32
	v_sub_f16_e32 v21, v61, v21
	v_lshrrev_b32_e32 v66, 16, v24
	v_fma_f16 v26, v39, v69, -v26
	v_fma_f16 v18, v18, 2.0, -v32
	v_fma_f16 v39, v61, 2.0, -v21
	v_sub_f16_e32 v36, v23, v36
	v_sub_f16_e32 v22, v64, v22
	v_pack_b32_f16 v17, v17, v28
	v_pack_b32_f16 v20, v38, v20
	v_lshrrev_b32_e32 v68, 16, v19
	v_fma_f16 v23, v23, 2.0, -v36
	v_fma_f16 v61, v64, 2.0, -v22
	v_sub_f16_e32 v35, v24, v35
	v_sub_f16_e32 v25, v66, v25
	s_barrier
	ds_write2_b32 v40, v17, v20 offset1:13
	v_pack_b32_f16 v17, v18, v39
	v_pack_b32_f16 v18, v32, v21
	v_fma_f16 v24, v24, 2.0, -v35
	v_fma_f16 v63, v66, 2.0, -v25
	v_sub_f16_e32 v37, v19, v37
	v_sub_f16_e32 v26, v68, v26
	ds_write2_b32 v41, v17, v18 offset1:13
	v_pack_b32_f16 v17, v23, v61
	v_pack_b32_f16 v18, v36, v22
	v_fma_f16 v19, v19, 2.0, -v37
	v_fma_f16 v64, v68, 2.0, -v26
	ds_write2_b32 v42, v17, v18 offset1:13
	v_pack_b32_f16 v17, v24, v63
	v_pack_b32_f16 v18, v35, v25
	ds_write2_b32 v43, v17, v18 offset1:13
	v_pack_b32_f16 v17, v19, v64
	v_pack_b32_f16 v18, v37, v26
	ds_write2_b32 v44, v17, v18 offset1:13
	s_waitcnt lgkmcnt(0)
	s_barrier
	ds_read2_b32 v[17:18], v31 offset1:156
	ds_read2_b32 v[19:20], v27 offset0:48 offset1:204
	ds_read2_b32 v[21:22], v33 offset0:40 offset1:196
	;; [unrolled: 1-line block ×4, first 2 shown]
	s_waitcnt lgkmcnt(0)
	v_lshrrev_b32_e32 v28, 16, v17
	v_lshrrev_b32_e32 v32, 16, v20
	v_mul_f16_sdwa v43, v45, v32 dst_sel:DWORD dst_unused:UNUSED_PAD src0_sel:WORD_1 src1_sel:DWORD
	v_lshrrev_b32_e32 v36, 16, v21
	v_fma_f16 v43, v45, v20, v43
	v_mul_f16_sdwa v20, v45, v20 dst_sel:DWORD dst_unused:UNUSED_PAD src0_sel:WORD_1 src1_sel:DWORD
	v_fma_f16 v20, v45, v32, -v20
	v_mul_f16_sdwa v32, v46, v36 dst_sel:DWORD dst_unused:UNUSED_PAD src0_sel:WORD_1 src1_sel:DWORD
	v_lshrrev_b32_e32 v38, 16, v22
	v_fma_f16 v32, v46, v21, v32
	v_mul_f16_sdwa v21, v46, v21 dst_sel:DWORD dst_unused:UNUSED_PAD src0_sel:WORD_1 src1_sel:DWORD
	v_fma_f16 v21, v46, v36, -v21
	;; [unrolled: 5-line block ×4, first 2 shown]
	v_mul_f16_sdwa v40, v49, v42 dst_sel:DWORD dst_unused:UNUSED_PAD src0_sel:WORD_1 src1_sel:DWORD
	v_fma_f16 v40, v49, v26, v40
	v_mul_f16_sdwa v26, v49, v26 dst_sel:DWORD dst_unused:UNUSED_PAD src0_sel:WORD_1 src1_sel:DWORD
	v_lshrrev_b32_e32 v35, 16, v18
	v_fma_f16 v26, v49, v42, -v26
	v_sub_f16_e32 v42, v17, v43
	v_sub_f16_e32 v20, v28, v20
	v_lshrrev_b32_e32 v37, 16, v23
	v_fma_f16 v17, v17, 2.0, -v42
	v_fma_f16 v28, v28, 2.0, -v20
	v_sub_f16_e32 v32, v18, v32
	v_sub_f16_e32 v21, v35, v21
	v_lshrrev_b32_e32 v39, 16, v24
	v_fma_f16 v18, v18, 2.0, -v32
	v_fma_f16 v35, v35, 2.0, -v21
	v_sub_f16_e32 v36, v23, v36
	v_sub_f16_e32 v22, v37, v22
	v_pack_b32_f16 v17, v17, v28
	v_pack_b32_f16 v20, v42, v20
	v_lshrrev_b32_e32 v41, 16, v19
	v_fma_f16 v23, v23, 2.0, -v36
	v_fma_f16 v37, v37, 2.0, -v22
	v_sub_f16_e32 v38, v24, v38
	v_sub_f16_e32 v25, v39, v25
	s_barrier
	ds_write2_b32 v50, v17, v20 offset1:26
	v_pack_b32_f16 v17, v18, v35
	v_pack_b32_f16 v18, v32, v21
	v_fma_f16 v24, v24, 2.0, -v38
	v_fma_f16 v39, v39, 2.0, -v25
	v_sub_f16_e32 v40, v19, v40
	v_sub_f16_e32 v26, v41, v26
	ds_write2_b32 v51, v17, v18 offset1:26
	v_pack_b32_f16 v17, v23, v37
	v_pack_b32_f16 v18, v36, v22
	v_fma_f16 v19, v19, 2.0, -v40
	v_fma_f16 v41, v41, 2.0, -v26
	ds_write2_b32 v52, v17, v18 offset1:26
	v_pack_b32_f16 v17, v24, v39
	v_pack_b32_f16 v18, v38, v25
	ds_write2_b32 v53, v17, v18 offset1:26
	v_pack_b32_f16 v17, v19, v41
	v_pack_b32_f16 v18, v40, v26
	ds_write2_b32 v54, v17, v18 offset1:26
	s_waitcnt lgkmcnt(0)
	s_barrier
	ds_read2_b32 v[17:18], v31 offset1:156
	ds_read2_b32 v[19:20], v34 offset0:56 offset1:212
	ds_read2_b32 v[21:22], v27 offset0:48 offset1:204
	;; [unrolled: 1-line block ×4, first 2 shown]
	s_waitcnt lgkmcnt(4)
	v_lshrrev_b32_e32 v32, 16, v18
	v_mul_f16_sdwa v40, v0, v32 dst_sel:DWORD dst_unused:UNUSED_PAD src0_sel:WORD_1 src1_sel:DWORD
	s_waitcnt lgkmcnt(3)
	v_lshrrev_b32_e32 v27, 16, v19
	v_fma_f16 v40, v0, v18, v40
	v_mul_f16_sdwa v18, v0, v18 dst_sel:DWORD dst_unused:UNUSED_PAD src0_sel:WORD_1 src1_sel:DWORD
	v_fma_f16 v0, v0, v32, -v18
	v_mul_f16_sdwa v18, v1, v27 dst_sel:DWORD dst_unused:UNUSED_PAD src0_sel:WORD_1 src1_sel:DWORD
	v_lshrrev_b32_e32 v33, 16, v20
	v_fma_f16 v18, v1, v19, v18
	v_mul_f16_sdwa v19, v1, v19 dst_sel:DWORD dst_unused:UNUSED_PAD src0_sel:WORD_1 src1_sel:DWORD
	v_fma_f16 v1, v1, v27, -v19
	v_mul_f16_sdwa v19, v2, v33 dst_sel:DWORD dst_unused:UNUSED_PAD src0_sel:WORD_1 src1_sel:DWORD
	s_waitcnt lgkmcnt(2)
	v_lshrrev_b32_e32 v34, 16, v21
	v_fma_f16 v19, v2, v20, v19
	v_mul_f16_sdwa v20, v2, v20 dst_sel:DWORD dst_unused:UNUSED_PAD src0_sel:WORD_1 src1_sel:DWORD
	v_fma_f16 v2, v2, v33, -v20
	v_mul_f16_sdwa v20, v3, v34 dst_sel:DWORD dst_unused:UNUSED_PAD src0_sel:WORD_1 src1_sel:DWORD
	v_lshrrev_b32_e32 v35, 16, v22
	v_fma_f16 v20, v3, v21, v20
	v_mul_f16_sdwa v21, v3, v21 dst_sel:DWORD dst_unused:UNUSED_PAD src0_sel:WORD_1 src1_sel:DWORD
	v_fma_f16 v3, v3, v34, -v21
	;; [unrolled: 11-line block ×3, first 2 shown]
	v_mul_f16_sdwa v23, v6, v37 dst_sel:DWORD dst_unused:UNUSED_PAD src0_sel:WORD_1 src1_sel:DWORD
	s_waitcnt lgkmcnt(0)
	v_lshrrev_b32_e32 v38, 16, v25
	v_fma_f16 v23, v6, v24, v23
	v_mul_f16_sdwa v24, v6, v24 dst_sel:DWORD dst_unused:UNUSED_PAD src0_sel:WORD_1 src1_sel:DWORD
	v_fma_f16 v6, v6, v37, -v24
	v_mul_f16_sdwa v24, v7, v38 dst_sel:DWORD dst_unused:UNUSED_PAD src0_sel:WORD_1 src1_sel:DWORD
	v_fma_f16 v24, v7, v25, v24
	v_mul_f16_sdwa v25, v7, v25 dst_sel:DWORD dst_unused:UNUSED_PAD src0_sel:WORD_1 src1_sel:DWORD
	v_fma_f16 v7, v7, v38, -v25
	v_add_f16_e32 v32, v20, v22
	v_fma_f16 v32, v32, -0.5, v17
	v_sub_f16_e32 v33, v1, v7
	s_mov_b32 s4, 0xbb9c
	s_movk_i32 s7, 0x3b9c
	v_fma_f16 v34, v33, s4, v32
	v_sub_f16_e32 v35, v3, v5
	s_mov_b32 s5, 0xb8b4
	v_sub_f16_e32 v36, v18, v20
	v_sub_f16_e32 v37, v24, v22
	v_fma_f16 v32, v33, s7, v32
	s_movk_i32 s16, 0x38b4
	v_fma_f16 v34, v35, s5, v34
	v_add_f16_e32 v36, v36, v37
	s_movk_i32 s6, 0x34f2
	v_fma_f16 v32, v35, s16, v32
	v_fma_f16 v34, v36, s6, v34
	v_fma_f16 v32, v36, s6, v32
	v_add_f16_e32 v36, v18, v24
	v_lshrrev_b32_e32 v28, 16, v17
	v_add_f16_e32 v27, v17, v18
	v_fma_f16 v17, v36, -0.5, v17
	v_add_f16_e32 v27, v27, v20
	v_fma_f16 v36, v35, s7, v17
	v_fma_f16 v17, v35, s4, v17
	v_add_f16_e32 v35, v3, v5
	v_add_f16_e32 v27, v27, v22
	v_sub_f16_e32 v37, v20, v18
	v_sub_f16_e32 v38, v22, v24
	v_fma_f16 v35, v35, -0.5, v28
	v_sub_f16_e32 v18, v18, v24
	v_add_f16_e32 v27, v27, v24
	v_fma_f16 v36, v33, s5, v36
	v_add_f16_e32 v37, v37, v38
	v_fma_f16 v17, v33, s16, v17
	v_fma_f16 v24, v18, s7, v35
	v_sub_f16_e32 v20, v20, v22
	v_fma_f16 v36, v37, s6, v36
	v_fma_f16 v17, v37, s6, v17
	;; [unrolled: 1-line block ×3, first 2 shown]
	v_sub_f16_e32 v24, v1, v3
	v_sub_f16_e32 v37, v7, v5
	v_fma_f16 v35, v18, s4, v35
	v_lshrrev_b32_e32 v39, 16, v26
	v_add_f16_e32 v33, v28, v1
	v_add_f16_e32 v24, v24, v37
	v_fma_f16 v35, v20, s5, v35
	v_mul_f16_sdwa v25, v55, v39 dst_sel:DWORD dst_unused:UNUSED_PAD src0_sel:WORD_1 src1_sel:DWORD
	v_add_f16_e32 v33, v33, v3
	v_fma_f16 v22, v24, s6, v22
	v_fma_f16 v24, v24, s6, v35
	v_add_f16_e32 v35, v1, v7
	v_fma_f16 v25, v55, v26, v25
	v_mul_f16_sdwa v26, v55, v26 dst_sel:DWORD dst_unused:UNUSED_PAD src0_sel:WORD_1 src1_sel:DWORD
	v_add_f16_e32 v33, v33, v5
	v_fma_f16 v28, v35, -0.5, v28
	v_fma_f16 v26, v55, v39, -v26
	v_add_f16_e32 v33, v33, v7
	v_fma_f16 v35, v20, s4, v28
	v_sub_f16_e32 v1, v3, v1
	v_sub_f16_e32 v3, v5, v7
	v_fma_f16 v5, v20, s7, v28
	v_add_f16_e32 v7, v21, v23
	v_fma_f16 v35, v18, s16, v35
	v_add_f16_e32 v1, v1, v3
	v_fma_f16 v5, v18, s5, v5
	v_fma_f16 v7, v7, -0.5, v40
	v_sub_f16_e32 v18, v2, v26
	v_fma_f16 v3, v1, s6, v35
	v_fma_f16 v20, v18, s4, v7
	v_sub_f16_e32 v28, v4, v6
	v_sub_f16_e32 v35, v19, v21
	;; [unrolled: 1-line block ×3, first 2 shown]
	v_fma_f16 v7, v18, s7, v7
	v_fma_f16 v20, v28, s5, v20
	v_add_f16_e32 v35, v35, v37
	v_fma_f16 v7, v28, s16, v7
	v_fma_f16 v20, v35, s6, v20
	;; [unrolled: 1-line block ×3, first 2 shown]
	v_add_f16_e32 v35, v19, v25
	v_fma_f16 v1, v1, s6, v5
	v_add_f16_e32 v5, v40, v19
	v_fma_f16 v35, v35, -0.5, v40
	v_add_f16_e32 v5, v5, v21
	v_fma_f16 v37, v28, s7, v35
	v_fma_f16 v28, v28, s4, v35
	v_add_f16_e32 v35, v4, v6
	v_add_f16_e32 v5, v5, v23
	v_sub_f16_e32 v38, v21, v19
	v_sub_f16_e32 v39, v23, v25
	v_fma_f16 v35, v35, -0.5, v0
	v_sub_f16_e32 v19, v19, v25
	v_add_f16_e32 v5, v5, v25
	v_fma_f16 v37, v18, s5, v37
	v_add_f16_e32 v38, v38, v39
	v_fma_f16 v18, v18, s16, v28
	v_fma_f16 v25, v19, s7, v35
	v_sub_f16_e32 v21, v21, v23
	v_fma_f16 v37, v38, s6, v37
	v_fma_f16 v18, v38, s6, v18
	;; [unrolled: 1-line block ×3, first 2 shown]
	v_sub_f16_e32 v25, v2, v4
	v_sub_f16_e32 v38, v26, v6
	v_fma_f16 v35, v19, s4, v35
	v_add_f16_e32 v25, v25, v38
	v_fma_f16 v35, v21, s5, v35
	v_fma_f16 v23, v25, s6, v23
	;; [unrolled: 1-line block ×3, first 2 shown]
	v_add_f16_e32 v35, v2, v26
	v_add_f16_e32 v28, v0, v2
	v_fma_f16 v0, v35, -0.5, v0
	v_add_f16_e32 v28, v28, v4
	v_fma_f16 v35, v21, s4, v0
	v_sub_f16_e32 v2, v4, v2
	v_sub_f16_e32 v4, v6, v26
	v_fma_f16 v0, v21, s7, v0
	v_fma_f16 v35, v19, s16, v35
	v_add_f16_e32 v2, v2, v4
	v_fma_f16 v0, v19, s5, v0
	v_add_f16_e32 v28, v28, v6
	v_fma_f16 v4, v2, s6, v35
	v_fma_f16 v0, v2, s6, v0
	v_mul_f16_e32 v6, 0xb8b4, v23
	s_movk_i32 s4, 0x3a79
	v_mul_f16_e32 v23, 0x3a79, v23
	v_add_f16_e32 v28, v28, v26
	v_fma_f16 v6, v20, s4, v6
	v_mul_f16_e32 v21, 0xbb9c, v4
	v_mul_f16_e32 v35, 0xbb9c, v0
	s_mov_b32 s4, 0xb4f2
	v_fma_f16 v20, v20, s16, v23
	v_mul_f16_e32 v4, 0x34f2, v4
	v_mul_f16_e32 v0, 0xb4f2, v0
	v_add_f16_e32 v2, v27, v5
	v_add_f16_e32 v19, v34, v6
	v_fma_f16 v21, v37, s6, v21
	v_fma_f16 v35, v18, s4, v35
	v_mul_f16_e32 v39, 0xb8b4, v25
	s_mov_b32 s4, 0xba79
	v_add_f16_e32 v41, v33, v28
	v_add_f16_e32 v23, v22, v20
	v_fma_f16 v4, v37, s7, v4
	v_fma_f16 v0, v18, s7, v0
	v_mul_f16_e32 v18, 0xba79, v25
	v_add_f16_e32 v26, v36, v21
	v_add_f16_e32 v38, v17, v35
	v_fma_f16 v39, v7, s4, v39
	v_add_f16_e32 v37, v3, v4
	v_add_f16_e32 v42, v1, v0
	v_fma_f16 v7, v7, s16, v18
	v_sub_f16_e32 v0, v1, v0
	v_pack_b32_f16 v1, v2, v41
	v_pack_b32_f16 v2, v19, v23
	v_add_f16_e32 v40, v32, v39
	v_add_f16_e32 v25, v24, v7
	v_sub_f16_e32 v5, v27, v5
	v_sub_f16_e32 v28, v33, v28
	s_barrier
	ds_write2_b32 v56, v1, v2 offset1:52
	v_pack_b32_f16 v1, v26, v37
	v_pack_b32_f16 v2, v38, v42
	v_sub_f16_e32 v6, v34, v6
	v_sub_f16_e32 v21, v36, v21
	;; [unrolled: 1-line block ×4, first 2 shown]
	ds_write2_b32 v56, v1, v2 offset0:104 offset1:156
	v_pack_b32_f16 v1, v40, v25
	v_pack_b32_f16 v2, v5, v28
	v_add_u32_e32 v4, 0x200, v56
	v_sub_f16_e32 v27, v17, v35
	v_sub_f16_e32 v17, v32, v39
	;; [unrolled: 1-line block ×3, first 2 shown]
	ds_write2_b32 v4, v1, v2 offset0:80 offset1:132
	v_pack_b32_f16 v1, v6, v20
	v_pack_b32_f16 v2, v21, v3
	v_add_u32_e32 v3, 0x400, v56
	ds_write2_b32 v3, v1, v2 offset0:56 offset1:108
	v_pack_b32_f16 v0, v27, v0
	v_pack_b32_f16 v1, v17, v18
	v_add_u32_e32 v19, 0x480, v31
	v_add_u32_e32 v21, 0x1000, v31
	;; [unrolled: 1-line block ×3, first 2 shown]
	ds_write2_b32 v3, v0, v1 offset0:160 offset1:212
	s_waitcnt lgkmcnt(0)
	s_barrier
	ds_read2_b32 v[2:3], v31 offset1:156
	ds_read2_b32 v[0:1], v19 offset0:24 offset1:232
	ds_read2_b32 v[6:7], v21 offset0:16 offset1:172
	;; [unrolled: 1-line block ×3, first 2 shown]
	ds_read_b32 v22, v31 offset:5408
	s_and_saveexec_b64 s[4:5], s[2:3]
	s_cbranch_execz .LBB0_19
; %bb.18:
	ds_read_b32 v17, v31 offset:1872
	ds_read_b32 v58, v31 offset:3952
	;; [unrolled: 1-line block ×3, first 2 shown]
	s_waitcnt lgkmcnt(2)
	v_lshrrev_b32_e32 v18, 16, v17
	s_waitcnt lgkmcnt(1)
	v_lshrrev_b32_e32 v60, 16, v58
	;; [unrolled: 2-line block ×3, first 2 shown]
.LBB0_19:
	s_or_b64 exec, exec, s[4:5]
	s_waitcnt lgkmcnt(3)
	v_lshrrev_b32_e32 v24, 16, v1
	v_mul_f16_sdwa v35, v11, v24 dst_sel:DWORD dst_unused:UNUSED_PAD src0_sel:WORD_1 src1_sel:DWORD
	s_waitcnt lgkmcnt(2)
	v_lshrrev_b32_e32 v25, 16, v6
	v_fma_f16 v35, v11, v1, v35
	v_mul_f16_sdwa v1, v11, v1 dst_sel:DWORD dst_unused:UNUSED_PAD src0_sel:WORD_1 src1_sel:DWORD
	v_fma_f16 v1, v11, v24, -v1
	v_mul_f16_sdwa v11, v12, v25 dst_sel:DWORD dst_unused:UNUSED_PAD src0_sel:WORD_1 src1_sel:DWORD
	s_waitcnt lgkmcnt(1)
	v_lshrrev_b32_e32 v27, 16, v4
	v_fma_f16 v11, v12, v6, v11
	v_mul_f16_sdwa v6, v12, v6 dst_sel:DWORD dst_unused:UNUSED_PAD src0_sel:WORD_1 src1_sel:DWORD
	v_fma_f16 v6, v12, v25, -v6
	v_mul_f16_sdwa v12, v13, v27 dst_sel:DWORD dst_unused:UNUSED_PAD src0_sel:WORD_1 src1_sel:DWORD
	v_lshrrev_b32_e32 v28, 16, v7
	v_fma_f16 v12, v13, v4, v12
	v_mul_f16_sdwa v4, v13, v4 dst_sel:DWORD dst_unused:UNUSED_PAD src0_sel:WORD_1 src1_sel:DWORD
	v_fma_f16 v4, v13, v27, -v4
	v_mul_f16_sdwa v13, v14, v28 dst_sel:DWORD dst_unused:UNUSED_PAD src0_sel:WORD_1 src1_sel:DWORD
	;; [unrolled: 5-line block ×3, first 2 shown]
	s_waitcnt lgkmcnt(0)
	v_lshrrev_b32_e32 v34, 16, v22
	v_fma_f16 v14, v15, v5, v14
	v_mul_f16_sdwa v5, v15, v5 dst_sel:DWORD dst_unused:UNUSED_PAD src0_sel:WORD_1 src1_sel:DWORD
	v_fma_f16 v5, v15, v33, -v5
	v_mul_f16_sdwa v15, v16, v34 dst_sel:DWORD dst_unused:UNUSED_PAD src0_sel:WORD_1 src1_sel:DWORD
	v_fma_f16 v15, v16, v22, v15
	v_mul_f16_sdwa v22, v16, v22 dst_sel:DWORD dst_unused:UNUSED_PAD src0_sel:WORD_1 src1_sel:DWORD
	v_add_f16_e32 v24, v35, v11
	v_lshrrev_b32_e32 v23, 16, v2
	v_fma_f16 v16, v16, v34, -v22
	v_add_f16_e32 v22, v2, v35
	v_fma_f16 v2, v24, -0.5, v2
	v_sub_f16_e32 v24, v1, v6
	s_mov_b32 s6, 0xbaee
	s_movk_i32 s7, 0x3aee
	v_fma_f16 v25, v24, s6, v2
	v_fma_f16 v2, v24, s7, v2
	v_add_f16_e32 v24, v23, v1
	v_add_f16_e32 v1, v1, v6
	;; [unrolled: 1-line block ×3, first 2 shown]
	v_fma_f16 v1, v1, -0.5, v23
	v_sub_f16_e32 v6, v35, v11
	v_add_f16_e32 v23, v12, v13
	v_lshrrev_b32_e32 v26, 16, v3
	v_add_f16_e32 v22, v22, v11
	v_fma_f16 v11, v6, s7, v1
	v_fma_f16 v1, v6, s6, v1
	v_add_f16_e32 v6, v3, v12
	v_fma_f16 v3, v23, -0.5, v3
	v_sub_f16_e32 v23, v4, v7
	v_fma_f16 v27, v23, s6, v3
	v_fma_f16 v3, v23, s7, v3
	v_add_f16_e32 v23, v26, v4
	v_add_f16_e32 v4, v4, v7
	;; [unrolled: 1-line block ×4, first 2 shown]
	v_fma_f16 v4, v4, -0.5, v26
	v_sub_f16_e32 v7, v12, v13
	v_add_f16_e32 v13, v14, v15
	v_lshrrev_b32_e32 v32, 16, v0
	v_fma_f16 v12, v7, s7, v4
	v_fma_f16 v4, v7, s6, v4
	v_add_f16_e32 v7, v0, v14
	v_fma_f16 v0, v13, -0.5, v0
	v_sub_f16_e32 v13, v5, v16
	v_fma_f16 v26, v13, s6, v0
	v_fma_f16 v0, v13, s7, v0
	v_add_f16_e32 v13, v32, v5
	v_add_f16_e32 v5, v5, v16
	;; [unrolled: 1-line block ×4, first 2 shown]
	v_fma_f16 v5, v5, -0.5, v32
	v_sub_f16_e32 v14, v14, v15
	v_pack_b32_f16 v1, v2, v1
	v_pack_b32_f16 v3, v3, v4
	v_fma_f16 v15, v14, s7, v5
	v_fma_f16 v5, v14, s6, v5
	v_pack_b32_f16 v14, v22, v24
	v_pack_b32_f16 v11, v25, v11
	;; [unrolled: 1-line block ×3, first 2 shown]
	ds_write2_b32 v21, v1, v3 offset0:16 offset1:172
	v_pack_b32_f16 v1, v7, v13
	ds_write2_b32 v31, v14, v2 offset1:156
	v_pack_b32_f16 v2, v27, v12
	ds_write2_b32 v19, v1, v11 offset0:24 offset1:232
	v_pack_b32_f16 v1, v26, v15
	v_pack_b32_f16 v0, v0, v5
	ds_write2_b32 v20, v2, v1 offset0:36 offset1:192
	ds_write_b32 v31, v0 offset:5408
	s_and_saveexec_b64 s[4:5], s[2:3]
	s_cbranch_execz .LBB0_21
; %bb.20:
	v_mul_f16_sdwa v0, v10, v57 dst_sel:DWORD dst_unused:UNUSED_PAD src0_sel:WORD_1 src1_sel:DWORD
	v_mul_f16_sdwa v1, v9, v58 dst_sel:DWORD dst_unused:UNUSED_PAD src0_sel:WORD_1 src1_sel:DWORD
	v_mul_f16_sdwa v3, v9, v60 dst_sel:DWORD dst_unused:UNUSED_PAD src0_sel:WORD_1 src1_sel:DWORD
	v_mul_f16_sdwa v5, v10, v59 dst_sel:DWORD dst_unused:UNUSED_PAD src0_sel:WORD_1 src1_sel:DWORD
	v_fma_f16 v0, v10, v59, -v0
	v_fma_f16 v1, v9, v60, -v1
	v_fma_f16 v3, v9, v58, v3
	v_fma_f16 v5, v10, v57, v5
	v_add_f16_e32 v2, v1, v18
	v_add_f16_e32 v4, v3, v17
	;; [unrolled: 1-line block ×3, first 2 shown]
	v_sub_f16_e32 v7, v3, v5
	v_add_f16_e32 v3, v3, v5
	v_add_f16_e32 v2, v0, v2
	v_fma_f16 v6, v6, -0.5, v18
	v_fma_f16 v3, v3, -0.5, v17
	v_sub_f16_e32 v0, v1, v0
	v_fma_f16 v9, v7, s6, v6
	v_fma_f16 v6, v7, s7, v6
	;; [unrolled: 1-line block ×4, first 2 shown]
	v_add_f16_e32 v4, v4, v5
	v_pack_b32_f16 v0, v0, v6
	v_pack_b32_f16 v2, v4, v2
	ds_write_b32 v31, v0 offset:3952
	v_pack_b32_f16 v0, v1, v9
	ds_write_b32 v31, v2 offset:1872
	ds_write_b32 v31, v0 offset:6032
.LBB0_21:
	s_or_b64 exec, exec, s[4:5]
	s_waitcnt lgkmcnt(0)
	s_barrier
	s_and_b64 exec, exec, s[0:1]
	s_cbranch_execz .LBB0_23
; %bb.22:
	global_load_dword v7, v29, s[12:13]
	ds_read_b32 v9, v31
	global_load_dword v5, v29, s[12:13] offset:480
	global_load_dword v6, v29, s[12:13] offset:960
	;; [unrolled: 1-line block ×4, first 2 shown]
	v_mad_u64_u32 v[2:3], s[0:1], s10, v8, 0
	v_mov_b32_e32 v0, s13
	s_waitcnt lgkmcnt(0)
	v_lshrrev_b32_e32 v15, 16, v9
	s_mov_b32 s6, 0x15015015
	v_add_co_u32_e32 v1, vcc, s12, v29
	s_mov_b32 s7, 0x3f450150
	s_movk_i32 s0, 0x1000
	v_mov_b32_e32 v4, 0x7c00
	v_addc_co_u32_e32 v12, vcc, 0, v0, vcc
	v_add_co_u32_e32 v0, vcc, s0, v1
	s_movk_i32 s10, 0x1ff
	v_addc_co_u32_e32 v1, vcc, 0, v12, vcc
	s_movk_i32 s16, 0xffe
	global_load_dword v13, v[0:1], off offset:224
	global_load_dword v14, v[0:1], off offset:704
	;; [unrolled: 1-line block ×3, first 2 shown]
	ds_read2_b32 v[19:20], v29 offset0:120 offset1:240
	s_movk_i32 s17, 0x40f
	s_mov_b32 s18, 0x8000
	s_waitcnt vmcnt(7)
	v_mul_f16_sdwa v16, v15, v7 dst_sel:DWORD dst_unused:UNUSED_PAD src0_sel:DWORD src1_sel:WORD_1
	v_fma_f16 v16, v9, v7, v16
	v_mul_f16_sdwa v9, v9, v7 dst_sel:DWORD dst_unused:UNUSED_PAD src0_sel:DWORD src1_sel:WORD_1
	v_cvt_f32_f16_e32 v16, v16
	v_fma_f16 v7, v7, v15, -v9
	v_cvt_f32_f16_e32 v7, v7
	v_cvt_f64_f32_e32 v[15:16], v16
	v_cvt_f64_f32_e32 v[17:18], v7
	v_mad_u64_u32 v[7:8], s[0:1], s11, v8, v[3:4]
	v_mul_f64 v[15:16], v[15:16], s[6:7]
	v_mul_f64 v[8:9], v[17:18], s[6:7]
	v_mov_b32_e32 v3, v7
	v_mad_u64_u32 v[17:18], s[0:1], s8, v30, 0
	v_lshlrev_b64 v[2:3], 2, v[2:3]
	v_and_or_b32 v7, v16, s10, v15
	v_and_or_b32 v8, v9, s10, v8
	v_cmp_ne_u32_e32 vcc, 0, v7
	v_lshrrev_b32_e32 v15, 8, v16
	v_bfe_u32 v21, v16, 20, 11
	v_cndmask_b32_e64 v7, 0, 1, vcc
	v_cmp_ne_u32_e32 vcc, 0, v8
	v_lshrrev_b32_e32 v22, 8, v9
	v_bfe_u32 v23, v9, 20, 11
	v_sub_u32_e32 v24, 0x3f1, v21
	v_cndmask_b32_e64 v8, 0, 1, vcc
	v_and_or_b32 v7, v15, s16, v7
	v_sub_u32_e32 v25, 0x3f1, v23
	v_med3_i32 v15, v24, 0, 13
	v_and_or_b32 v8, v22, s16, v8
	v_or_b32_e32 v24, 0x1000, v7
	v_add_u32_e32 v21, 0xfffffc10, v21
	v_med3_i32 v22, v25, 0, 13
	v_cmp_ne_u32_e32 vcc, 0, v7
	v_or_b32_e32 v26, 0x1000, v8
	v_lshrrev_b32_e32 v28, v15, v24
	v_add_u32_e32 v23, 0xfffffc10, v23
	v_lshl_or_b32 v25, v21, 12, v7
	v_cndmask_b32_e64 v7, 0, 1, vcc
	v_cmp_ne_u32_e32 vcc, 0, v8
	v_lshrrev_b32_e32 v31, v22, v26
	v_lshlrev_b32_e32 v15, v15, v28
	v_lshl_or_b32 v27, v23, 12, v8
	v_cndmask_b32_e64 v8, 0, 1, vcc
	v_lshlrev_b32_e32 v22, v22, v31
	v_cmp_ne_u32_e32 vcc, v15, v24
	v_cndmask_b32_e64 v15, 0, 1, vcc
	v_cmp_ne_u32_e32 vcc, v22, v26
	v_cndmask_b32_e64 v22, 0, 1, vcc
	v_or_b32_e32 v15, v28, v15
	v_cmp_gt_i32_e32 vcc, 1, v21
	v_cndmask_b32_e32 v15, v25, v15, vcc
	v_or_b32_e32 v22, v31, v22
	v_cmp_gt_i32_e32 vcc, 1, v23
	v_and_b32_e32 v24, 7, v15
	v_cndmask_b32_e32 v22, v27, v22, vcc
	v_cmp_lt_i32_e32 vcc, 5, v24
	v_cmp_eq_u32_e64 s[0:1], 3, v24
	v_lshrrev_b32_e32 v15, 2, v15
	v_and_b32_e32 v25, 7, v22
	s_or_b64 vcc, s[0:1], vcc
	v_cmp_lt_i32_e64 s[2:3], 5, v25
	v_cmp_eq_u32_e64 s[4:5], 3, v25
	v_addc_co_u32_e32 v15, vcc, 0, v15, vcc
	v_lshrrev_b32_e32 v22, 2, v22
	s_or_b64 vcc, s[4:5], s[2:3]
	v_addc_co_u32_e32 v22, vcc, 0, v22, vcc
	v_cmp_gt_i32_e32 vcc, 31, v21
	v_cndmask_b32_e32 v15, v4, v15, vcc
	v_cmp_gt_i32_e32 vcc, 31, v23
	v_lshl_or_b32 v7, v7, 9, v4
	v_cndmask_b32_e32 v22, v4, v22, vcc
	v_cmp_eq_u32_e32 vcc, s17, v21
	v_lshrrev_b32_e32 v16, 16, v16
	v_cndmask_b32_e32 v7, v15, v7, vcc
	v_lshl_or_b32 v8, v8, 9, v4
	v_cmp_eq_u32_e32 vcc, s17, v23
	v_and_or_b32 v16, v16, s18, v7
	v_mov_b32_e32 v7, v18
	v_cndmask_b32_e32 v15, v22, v8, vcc
	v_mad_u64_u32 v[7:8], s[0:1], s9, v30, v[7:8]
	s_waitcnt lgkmcnt(0)
	v_lshrrev_b32_e32 v21, 16, v19
	s_waitcnt vmcnt(6)
	v_mul_f16_sdwa v8, v21, v5 dst_sel:DWORD dst_unused:UNUSED_PAD src0_sel:DWORD src1_sel:WORD_1
	v_fma_f16 v8, v19, v5, v8
	v_cvt_f32_f16_e32 v8, v8
	v_mov_b32_e32 v18, v7
	v_lshrrev_b32_e32 v9, 16, v9
	v_and_or_b32 v9, v9, s18, v15
	v_cvt_f64_f32_e32 v[7:8], v8
	v_and_b32_e32 v15, 0xffff, v16
	v_lshl_or_b32 v9, v9, 16, v15
	v_mov_b32_e32 v15, s15
	v_mul_f64 v[7:8], v[7:8], s[6:7]
	v_add_co_u32_e32 v16, vcc, s14, v2
	v_addc_co_u32_e32 v15, vcc, v15, v3, vcc
	v_lshlrev_b64 v[2:3], 2, v[17:18]
	s_mul_hi_u32 s2, s8, 0x1e0
	v_add_co_u32_e32 v2, vcc, v16, v2
	v_addc_co_u32_e32 v3, vcc, v15, v3, vcc
	v_and_or_b32 v7, v8, s10, v7
	v_cmp_ne_u32_e32 vcc, 0, v7
	global_store_dword v[2:3], v9, off
	v_cndmask_b32_e64 v7, 0, 1, vcc
	v_lshrrev_b32_e32 v9, 8, v8
	v_bfe_u32 v15, v8, 20, 11
	v_and_or_b32 v7, v9, s16, v7
	v_sub_u32_e32 v16, 0x3f1, v15
	v_or_b32_e32 v9, 0x1000, v7
	v_med3_i32 v16, v16, 0, 13
	v_lshrrev_b32_e32 v17, v16, v9
	v_lshlrev_b32_e32 v16, v16, v17
	v_cmp_ne_u32_e32 vcc, v16, v9
	v_mul_f16_sdwa v16, v19, v5 dst_sel:DWORD dst_unused:UNUSED_PAD src0_sel:DWORD src1_sel:WORD_1
	v_cndmask_b32_e64 v9, 0, 1, vcc
	v_fma_f16 v5, v5, v21, -v16
	v_or_b32_e32 v9, v17, v9
	v_add_u32_e32 v17, 0xfffffc10, v15
	v_cvt_f32_f16_e32 v5, v5
	v_lshl_or_b32 v15, v17, 12, v7
	v_cmp_gt_i32_e32 vcc, 1, v17
	v_cndmask_b32_e32 v9, v15, v9, vcc
	v_and_b32_e32 v15, 7, v9
	v_cmp_lt_i32_e32 vcc, 5, v15
	v_cmp_eq_u32_e64 s[0:1], 3, v15
	v_cvt_f64_f32_e32 v[15:16], v5
	v_lshrrev_b32_e32 v9, 2, v9
	s_or_b64 vcc, s[0:1], vcc
	v_addc_co_u32_e32 v5, vcc, 0, v9, vcc
	v_mul_f64 v[15:16], v[15:16], s[6:7]
	v_cmp_gt_i32_e32 vcc, 31, v17
	v_cndmask_b32_e32 v5, v4, v5, vcc
	v_cmp_ne_u32_e32 vcc, 0, v7
	v_cndmask_b32_e64 v7, 0, 1, vcc
	v_lshl_or_b32 v7, v7, 9, v4
	v_cmp_eq_u32_e32 vcc, s17, v17
	v_cndmask_b32_e32 v5, v5, v7, vcc
	v_lshrrev_b32_e32 v7, 16, v8
	v_and_or_b32 v5, v7, s18, v5
	v_and_or_b32 v7, v16, s10, v15
	v_cmp_ne_u32_e32 vcc, 0, v7
	v_cndmask_b32_e64 v7, 0, 1, vcc
	v_lshrrev_b32_e32 v8, 8, v16
	v_bfe_u32 v9, v16, 20, 11
	v_and_or_b32 v7, v8, s16, v7
	v_sub_u32_e32 v15, 0x3f1, v9
	v_or_b32_e32 v8, 0x1000, v7
	v_med3_i32 v15, v15, 0, 13
	v_lshrrev_b32_e32 v17, v15, v8
	v_lshlrev_b32_e32 v15, v15, v17
	v_cmp_ne_u32_e32 vcc, v15, v8
	v_cndmask_b32_e64 v8, 0, 1, vcc
	v_add_u32_e32 v9, 0xfffffc10, v9
	v_or_b32_e32 v8, v17, v8
	v_lshl_or_b32 v15, v9, 12, v7
	v_cmp_gt_i32_e32 vcc, 1, v9
	v_cndmask_b32_e32 v8, v15, v8, vcc
	v_and_b32_e32 v15, 7, v8
	v_cmp_lt_i32_e32 vcc, 5, v15
	v_cmp_eq_u32_e64 s[0:1], 3, v15
	v_lshrrev_b32_e32 v8, 2, v8
	s_or_b64 vcc, s[0:1], vcc
	v_addc_co_u32_e32 v8, vcc, 0, v8, vcc
	v_cmp_gt_i32_e32 vcc, 31, v9
	v_cndmask_b32_e32 v8, v4, v8, vcc
	v_cmp_ne_u32_e32 vcc, 0, v7
	v_cndmask_b32_e64 v7, 0, 1, vcc
	v_cmp_eq_u32_e32 vcc, s17, v9
	v_lshrrev_b32_e32 v9, 16, v20
	s_waitcnt vmcnt(6)
	v_mul_f16_sdwa v15, v9, v6 dst_sel:DWORD dst_unused:UNUSED_PAD src0_sel:DWORD src1_sel:WORD_1
	v_fma_f16 v15, v20, v6, v15
	v_cvt_f32_f16_e32 v15, v15
	v_lshl_or_b32 v7, v7, 9, v4
	v_cndmask_b32_e32 v7, v8, v7, vcc
	v_lshrrev_b32_e32 v8, 16, v16
	v_and_or_b32 v7, v8, s18, v7
	v_and_b32_e32 v5, 0xffff, v5
	v_lshl_or_b32 v5, v7, 16, v5
	v_cvt_f64_f32_e32 v[7:8], v15
	s_mul_i32 s0, s9, 0x1e0
	s_add_i32 s2, s2, s0
	s_mul_i32 s3, s8, 0x1e0
	v_mul_f64 v[7:8], v[7:8], s[6:7]
	v_mov_b32_e32 v15, s2
	v_add_co_u32_e32 v2, vcc, s3, v2
	v_addc_co_u32_e32 v3, vcc, v3, v15, vcc
	global_store_dword v[2:3], v5, off
	v_and_or_b32 v5, v8, s10, v7
	v_cmp_ne_u32_e32 vcc, 0, v5
	v_cndmask_b32_e64 v5, 0, 1, vcc
	v_lshrrev_b32_e32 v7, 8, v8
	v_bfe_u32 v15, v8, 20, 11
	v_and_or_b32 v7, v7, s16, v5
	v_sub_u32_e32 v16, 0x3f1, v15
	v_or_b32_e32 v5, 0x1000, v7
	v_med3_i32 v16, v16, 0, 13
	v_lshrrev_b32_e32 v17, v16, v5
	v_lshlrev_b32_e32 v16, v16, v17
	v_cmp_ne_u32_e32 vcc, v16, v5
	v_cndmask_b32_e64 v5, 0, 1, vcc
	v_or_b32_e32 v5, v17, v5
	v_mul_f16_sdwa v17, v20, v6 dst_sel:DWORD dst_unused:UNUSED_PAD src0_sel:DWORD src1_sel:WORD_1
	v_fma_f16 v6, v6, v9, -v17
	v_cvt_f32_f16_e32 v6, v6
	v_add_u32_e32 v15, 0xfffffc10, v15
	v_lshl_or_b32 v16, v15, 12, v7
	v_cmp_gt_i32_e32 vcc, 1, v15
	v_cndmask_b32_e32 v5, v16, v5, vcc
	v_and_b32_e32 v16, 7, v5
	v_lshrrev_b32_e32 v9, 2, v5
	v_cvt_f64_f32_e32 v[5:6], v6
	v_cmp_lt_i32_e32 vcc, 5, v16
	v_cmp_eq_u32_e64 s[0:1], 3, v16
	s_or_b64 vcc, s[0:1], vcc
	v_mul_f64 v[5:6], v[5:6], s[6:7]
	v_addc_co_u32_e32 v9, vcc, 0, v9, vcc
	v_cmp_gt_i32_e32 vcc, 31, v15
	v_cndmask_b32_e32 v9, v4, v9, vcc
	v_cmp_ne_u32_e32 vcc, 0, v7
	v_cndmask_b32_e64 v7, 0, 1, vcc
	v_lshl_or_b32 v7, v7, 9, v4
	v_cmp_eq_u32_e32 vcc, s17, v15
	v_and_or_b32 v5, v6, s10, v5
	v_cndmask_b32_e32 v7, v9, v7, vcc
	v_lshrrev_b32_e32 v8, 16, v8
	v_cmp_ne_u32_e32 vcc, 0, v5
	v_and_or_b32 v9, v8, s18, v7
	v_cndmask_b32_e64 v5, 0, 1, vcc
	v_lshrrev_b32_e32 v7, 8, v6
	v_bfe_u32 v8, v6, 20, 11
	v_and_or_b32 v5, v7, s16, v5
	v_sub_u32_e32 v15, 0x3f1, v8
	v_or_b32_e32 v7, 0x1000, v5
	v_med3_i32 v15, v15, 0, 13
	v_lshrrev_b32_e32 v16, v15, v7
	v_lshlrev_b32_e32 v15, v15, v16
	v_cmp_ne_u32_e32 vcc, v15, v7
	v_cndmask_b32_e64 v7, 0, 1, vcc
	v_add_u32_e32 v15, 0xfffffc10, v8
	v_or_b32_e32 v7, v16, v7
	v_lshl_or_b32 v8, v15, 12, v5
	v_cmp_gt_i32_e32 vcc, 1, v15
	v_cndmask_b32_e32 v7, v8, v7, vcc
	v_and_b32_e32 v8, 7, v7
	v_cmp_lt_i32_e32 vcc, 5, v8
	v_cmp_eq_u32_e64 s[0:1], 3, v8
	v_lshrrev_b32_e32 v7, 2, v7
	s_or_b64 vcc, s[0:1], vcc
	v_addc_co_u32_e32 v16, vcc, 0, v7, vcc
	v_add_u32_e32 v7, 0x400, v29
	ds_read2_b32 v[7:8], v7 offset0:104 offset1:224
	v_cmp_gt_i32_e32 vcc, 31, v15
	v_cndmask_b32_e32 v16, v4, v16, vcc
	v_cmp_ne_u32_e32 vcc, 0, v5
	v_cndmask_b32_e64 v5, 0, 1, vcc
	s_waitcnt lgkmcnt(0)
	v_lshrrev_b32_e32 v17, 16, v7
	s_waitcnt vmcnt(6)
	v_mul_f16_sdwa v18, v17, v10 dst_sel:DWORD dst_unused:UNUSED_PAD src0_sel:DWORD src1_sel:WORD_1
	v_fma_f16 v18, v7, v10, v18
	v_cvt_f32_f16_e32 v18, v18
	v_lshl_or_b32 v5, v5, 9, v4
	v_cmp_eq_u32_e32 vcc, s17, v15
	v_cndmask_b32_e32 v5, v16, v5, vcc
	v_cvt_f64_f32_e32 v[15:16], v18
	v_lshrrev_b32_e32 v6, 16, v6
	v_and_or_b32 v18, v6, s18, v5
	v_add_co_u32_e32 v2, vcc, s3, v2
	v_mul_f64 v[5:6], v[15:16], s[6:7]
	v_mov_b32_e32 v15, s2
	v_and_b32_e32 v9, 0xffff, v9
	v_addc_co_u32_e32 v3, vcc, v3, v15, vcc
	v_lshl_or_b32 v9, v18, 16, v9
	global_store_dword v[2:3], v9, off
	v_mul_f16_sdwa v7, v7, v10 dst_sel:DWORD dst_unused:UNUSED_PAD src0_sel:DWORD src1_sel:WORD_1
	v_and_or_b32 v5, v6, s10, v5
	v_cmp_ne_u32_e32 vcc, 0, v5
	v_cndmask_b32_e64 v5, 0, 1, vcc
	v_lshrrev_b32_e32 v9, 8, v6
	v_bfe_u32 v15, v6, 20, 11
	v_and_or_b32 v5, v9, s16, v5
	v_sub_u32_e32 v16, 0x3f1, v15
	v_or_b32_e32 v9, 0x1000, v5
	v_med3_i32 v16, v16, 0, 13
	v_lshrrev_b32_e32 v18, v16, v9
	v_lshlrev_b32_e32 v16, v16, v18
	v_cmp_ne_u32_e32 vcc, v16, v9
	v_fma_f16 v7, v10, v17, -v7
	v_cndmask_b32_e64 v9, 0, 1, vcc
	v_add_u32_e32 v15, 0xfffffc10, v15
	v_cvt_f32_f16_e32 v7, v7
	v_or_b32_e32 v9, v18, v9
	v_lshl_or_b32 v16, v15, 12, v5
	v_cmp_gt_i32_e32 vcc, 1, v15
	v_cndmask_b32_e32 v9, v16, v9, vcc
	v_and_b32_e32 v16, 7, v9
	v_cmp_lt_i32_e32 vcc, 5, v16
	v_cmp_eq_u32_e64 s[0:1], 3, v16
	v_lshrrev_b32_e32 v16, 2, v9
	v_cvt_f64_f32_e32 v[9:10], v7
	s_or_b64 vcc, s[0:1], vcc
	v_addc_co_u32_e32 v7, vcc, 0, v16, vcc
	v_mul_f64 v[9:10], v[9:10], s[6:7]
	v_cmp_gt_i32_e32 vcc, 31, v15
	v_cndmask_b32_e32 v7, v4, v7, vcc
	v_cmp_ne_u32_e32 vcc, 0, v5
	v_cndmask_b32_e64 v5, 0, 1, vcc
	v_lshl_or_b32 v5, v5, 9, v4
	v_cmp_eq_u32_e32 vcc, s17, v15
	v_cndmask_b32_e32 v5, v7, v5, vcc
	v_lshrrev_b32_e32 v6, 16, v6
	v_and_or_b32 v7, v6, s18, v5
	v_and_or_b32 v5, v10, s10, v9
	v_cmp_ne_u32_e32 vcc, 0, v5
	v_cndmask_b32_e64 v5, 0, 1, vcc
	v_lshrrev_b32_e32 v6, 8, v10
	v_bfe_u32 v9, v10, 20, 11
	v_and_or_b32 v5, v6, s16, v5
	v_sub_u32_e32 v15, 0x3f1, v9
	v_or_b32_e32 v6, 0x1000, v5
	v_med3_i32 v15, v15, 0, 13
	v_lshrrev_b32_e32 v16, v15, v6
	v_lshlrev_b32_e32 v15, v15, v16
	v_cmp_ne_u32_e32 vcc, v15, v6
	v_cndmask_b32_e64 v6, 0, 1, vcc
	v_add_u32_e32 v9, 0xfffffc10, v9
	v_or_b32_e32 v6, v16, v6
	v_lshl_or_b32 v15, v9, 12, v5
	v_cmp_gt_i32_e32 vcc, 1, v9
	v_cndmask_b32_e32 v6, v15, v6, vcc
	v_and_b32_e32 v15, 7, v6
	v_cmp_lt_i32_e32 vcc, 5, v15
	v_cmp_eq_u32_e64 s[0:1], 3, v15
	v_lshrrev_b32_e32 v15, 16, v8
	v_lshrrev_b32_e32 v6, 2, v6
	s_or_b64 vcc, s[0:1], vcc
	s_waitcnt vmcnt(6)
	v_mul_f16_sdwa v16, v15, v11 dst_sel:DWORD dst_unused:UNUSED_PAD src0_sel:DWORD src1_sel:WORD_1
	v_addc_co_u32_e32 v6, vcc, 0, v6, vcc
	v_fma_f16 v16, v8, v11, v16
	v_cmp_gt_i32_e32 vcc, 31, v9
	v_cvt_f32_f16_e32 v16, v16
	v_cndmask_b32_e32 v6, v4, v6, vcc
	v_cmp_ne_u32_e32 vcc, 0, v5
	v_cndmask_b32_e64 v5, 0, 1, vcc
	v_lshl_or_b32 v5, v5, 9, v4
	v_cmp_eq_u32_e32 vcc, s17, v9
	v_cndmask_b32_e32 v9, v6, v5, vcc
	v_cvt_f64_f32_e32 v[5:6], v16
	global_load_dword v16, v29, s[12:13] offset:2400
	v_lshrrev_b32_e32 v10, 16, v10
	v_and_or_b32 v9, v10, s18, v9
	v_mul_f64 v[5:6], v[5:6], s[6:7]
	v_and_b32_e32 v7, 0xffff, v7
	v_lshl_or_b32 v7, v9, 16, v7
	v_mov_b32_e32 v9, s2
	v_add_co_u32_e32 v2, vcc, s3, v2
	v_addc_co_u32_e32 v3, vcc, v3, v9, vcc
	v_and_or_b32 v5, v6, s10, v5
	v_cmp_ne_u32_e32 vcc, 0, v5
	global_store_dword v[2:3], v7, off
	v_cndmask_b32_e64 v5, 0, 1, vcc
	v_lshrrev_b32_e32 v7, 8, v6
	v_bfe_u32 v9, v6, 20, 11
	v_and_or_b32 v5, v7, s16, v5
	v_sub_u32_e32 v10, 0x3f1, v9
	v_or_b32_e32 v7, 0x1000, v5
	v_med3_i32 v10, v10, 0, 13
	v_lshrrev_b32_e32 v17, v10, v7
	v_lshlrev_b32_e32 v10, v10, v17
	v_mul_f16_sdwa v8, v8, v11 dst_sel:DWORD dst_unused:UNUSED_PAD src0_sel:DWORD src1_sel:WORD_1
	v_cmp_ne_u32_e32 vcc, v10, v7
	v_fma_f16 v8, v11, v15, -v8
	v_cndmask_b32_e64 v7, 0, 1, vcc
	v_add_u32_e32 v9, 0xfffffc10, v9
	v_cvt_f32_f16_e32 v8, v8
	v_or_b32_e32 v7, v17, v7
	v_lshl_or_b32 v10, v9, 12, v5
	v_cmp_gt_i32_e32 vcc, 1, v9
	v_cndmask_b32_e32 v7, v10, v7, vcc
	v_and_b32_e32 v10, 7, v7
	v_cmp_lt_i32_e32 vcc, 5, v10
	v_cmp_eq_u32_e64 s[0:1], 3, v10
	v_lshrrev_b32_e32 v10, 2, v7
	v_cvt_f64_f32_e32 v[7:8], v8
	s_or_b64 vcc, s[0:1], vcc
	v_addc_co_u32_e32 v10, vcc, 0, v10, vcc
	v_mul_f64 v[7:8], v[7:8], s[6:7]
	v_cmp_gt_i32_e32 vcc, 31, v9
	v_cndmask_b32_e32 v10, v4, v10, vcc
	v_cmp_ne_u32_e32 vcc, 0, v5
	v_cndmask_b32_e64 v5, 0, 1, vcc
	v_lshl_or_b32 v5, v5, 9, v4
	v_cmp_eq_u32_e32 vcc, s17, v9
	v_cndmask_b32_e32 v5, v10, v5, vcc
	v_lshrrev_b32_e32 v6, 16, v6
	v_and_or_b32 v11, v6, s18, v5
	v_and_or_b32 v5, v8, s10, v7
	v_cmp_ne_u32_e32 vcc, 0, v5
	v_cndmask_b32_e64 v5, 0, 1, vcc
	v_lshrrev_b32_e32 v6, 8, v8
	v_and_or_b32 v7, v6, s16, v5
	v_bfe_u32 v6, v8, 20, 11
	v_sub_u32_e32 v9, 0x3f1, v6
	v_or_b32_e32 v5, 0x1000, v7
	v_med3_i32 v9, v9, 0, 13
	v_lshrrev_b32_e32 v10, v9, v5
	v_lshlrev_b32_e32 v9, v9, v10
	v_cmp_ne_u32_e32 vcc, v9, v5
	v_cndmask_b32_e64 v5, 0, 1, vcc
	v_add_u32_e32 v9, 0xfffffc10, v6
	v_or_b32_e32 v5, v10, v5
	v_lshl_or_b32 v6, v9, 12, v7
	v_cmp_gt_i32_e32 vcc, 1, v9
	v_cndmask_b32_e32 v5, v6, v5, vcc
	v_and_b32_e32 v6, 7, v5
	v_cmp_lt_i32_e32 vcc, 5, v6
	v_cmp_eq_u32_e64 s[0:1], 3, v6
	v_lshrrev_b32_e32 v5, 2, v5
	s_or_b64 vcc, s[0:1], vcc
	v_addc_co_u32_e32 v10, vcc, 0, v5, vcc
	v_add_u32_e32 v5, 0x800, v29
	ds_read2_b32 v[5:6], v5 offset0:88 offset1:208
	global_load_dword v17, v29, s[12:13] offset:2880
	global_load_dword v18, v29, s[12:13] offset:3360
	;; [unrolled: 1-line block ×3, first 2 shown]
	v_cmp_gt_i32_e32 vcc, 31, v9
	v_cndmask_b32_e32 v10, v4, v10, vcc
	v_cmp_ne_u32_e32 vcc, 0, v7
	s_waitcnt lgkmcnt(0)
	v_lshrrev_b32_e32 v15, 16, v5
	s_waitcnt vmcnt(4)
	v_mul_f16_sdwa v20, v15, v16 dst_sel:DWORD dst_unused:UNUSED_PAD src0_sel:DWORD src1_sel:WORD_1
	v_fma_f16 v20, v5, v16, v20
	v_cvt_f32_f16_e32 v20, v20
	v_cndmask_b32_e64 v7, 0, 1, vcc
	v_lshl_or_b32 v7, v7, 9, v4
	v_cmp_eq_u32_e32 vcc, s17, v9
	v_cndmask_b32_e32 v7, v10, v7, vcc
	v_cvt_f64_f32_e32 v[9:10], v20
	v_lshrrev_b32_e32 v8, 16, v8
	v_and_or_b32 v20, v8, s18, v7
	v_add_co_u32_e32 v2, vcc, s3, v2
	v_mul_f64 v[7:8], v[9:10], s[6:7]
	v_mov_b32_e32 v10, s2
	v_and_b32_e32 v11, 0xffff, v11
	v_addc_co_u32_e32 v3, vcc, v3, v10, vcc
	v_lshl_or_b32 v9, v20, 16, v11
	global_store_dword v[2:3], v9, off
	v_mul_f16_sdwa v5, v5, v16 dst_sel:DWORD dst_unused:UNUSED_PAD src0_sel:DWORD src1_sel:WORD_1
	v_and_or_b32 v7, v8, s10, v7
	v_cmp_ne_u32_e32 vcc, 0, v7
	v_cndmask_b32_e64 v7, 0, 1, vcc
	v_lshrrev_b32_e32 v9, 8, v8
	v_bfe_u32 v10, v8, 20, 11
	v_and_or_b32 v7, v9, s16, v7
	v_sub_u32_e32 v11, 0x3f1, v10
	v_or_b32_e32 v9, 0x1000, v7
	v_med3_i32 v11, v11, 0, 13
	v_lshrrev_b32_e32 v20, v11, v9
	v_lshlrev_b32_e32 v11, v11, v20
	v_cmp_ne_u32_e32 vcc, v11, v9
	v_fma_f16 v5, v16, v15, -v5
	v_cndmask_b32_e64 v9, 0, 1, vcc
	v_add_u32_e32 v11, 0xfffffc10, v10
	v_cvt_f32_f16_e32 v5, v5
	v_or_b32_e32 v9, v20, v9
	v_lshl_or_b32 v10, v11, 12, v7
	v_cmp_gt_i32_e32 vcc, 1, v11
	v_cndmask_b32_e32 v9, v10, v9, vcc
	v_and_b32_e32 v10, 7, v9
	v_cmp_lt_i32_e32 vcc, 5, v10
	v_cmp_eq_u32_e64 s[0:1], 3, v10
	v_lshrrev_b32_e32 v15, 2, v9
	v_cvt_f64_f32_e32 v[9:10], v5
	s_or_b64 vcc, s[0:1], vcc
	v_addc_co_u32_e32 v5, vcc, 0, v15, vcc
	v_mul_f64 v[9:10], v[9:10], s[6:7]
	v_cmp_gt_i32_e32 vcc, 31, v11
	v_cndmask_b32_e32 v5, v4, v5, vcc
	v_cmp_ne_u32_e32 vcc, 0, v7
	v_cndmask_b32_e64 v7, 0, 1, vcc
	v_lshl_or_b32 v7, v7, 9, v4
	v_cmp_eq_u32_e32 vcc, s17, v11
	v_cndmask_b32_e32 v5, v5, v7, vcc
	v_lshrrev_b32_e32 v7, 16, v8
	v_and_or_b32 v5, v7, s18, v5
	v_and_or_b32 v7, v10, s10, v9
	v_cmp_ne_u32_e32 vcc, 0, v7
	v_cndmask_b32_e64 v7, 0, 1, vcc
	v_lshrrev_b32_e32 v8, 8, v10
	v_bfe_u32 v9, v10, 20, 11
	v_and_or_b32 v7, v8, s16, v7
	v_sub_u32_e32 v11, 0x3f1, v9
	v_or_b32_e32 v8, 0x1000, v7
	v_med3_i32 v11, v11, 0, 13
	v_lshrrev_b32_e32 v15, v11, v8
	v_lshlrev_b32_e32 v11, v11, v15
	v_cmp_ne_u32_e32 vcc, v11, v8
	v_cndmask_b32_e64 v8, 0, 1, vcc
	v_add_u32_e32 v9, 0xfffffc10, v9
	v_or_b32_e32 v8, v15, v8
	v_lshl_or_b32 v11, v9, 12, v7
	v_cmp_gt_i32_e32 vcc, 1, v9
	v_cndmask_b32_e32 v8, v11, v8, vcc
	v_and_b32_e32 v11, 7, v8
	v_cmp_lt_i32_e32 vcc, 5, v11
	v_cmp_eq_u32_e64 s[0:1], 3, v11
	v_lshrrev_b32_e32 v11, 16, v6
	v_lshrrev_b32_e32 v8, 2, v8
	s_or_b64 vcc, s[0:1], vcc
	s_waitcnt vmcnt(3)
	v_mul_f16_sdwa v15, v11, v17 dst_sel:DWORD dst_unused:UNUSED_PAD src0_sel:DWORD src1_sel:WORD_1
	v_addc_co_u32_e32 v8, vcc, 0, v8, vcc
	v_fma_f16 v15, v6, v17, v15
	v_cmp_gt_i32_e32 vcc, 31, v9
	v_cvt_f32_f16_e32 v15, v15
	v_cndmask_b32_e32 v8, v4, v8, vcc
	v_cmp_ne_u32_e32 vcc, 0, v7
	v_cndmask_b32_e64 v7, 0, 1, vcc
	v_lshl_or_b32 v7, v7, 9, v4
	v_cmp_eq_u32_e32 vcc, s17, v9
	v_cndmask_b32_e32 v9, v8, v7, vcc
	v_cvt_f64_f32_e32 v[7:8], v15
	v_lshrrev_b32_e32 v10, 16, v10
	v_and_or_b32 v9, v10, s18, v9
	v_and_b32_e32 v5, 0xffff, v5
	v_mul_f64 v[7:8], v[7:8], s[6:7]
	v_lshl_or_b32 v5, v9, 16, v5
	v_mov_b32_e32 v9, s2
	v_add_co_u32_e32 v2, vcc, s3, v2
	v_addc_co_u32_e32 v3, vcc, v3, v9, vcc
	global_store_dword v[2:3], v5, off
	v_and_or_b32 v5, v8, s10, v7
	v_cmp_ne_u32_e32 vcc, 0, v5
	v_cndmask_b32_e64 v5, 0, 1, vcc
	v_lshrrev_b32_e32 v7, 8, v8
	v_bfe_u32 v9, v8, 20, 11
	v_and_or_b32 v7, v7, s16, v5
	v_sub_u32_e32 v10, 0x3f1, v9
	v_or_b32_e32 v5, 0x1000, v7
	v_med3_i32 v10, v10, 0, 13
	v_lshrrev_b32_e32 v15, v10, v5
	v_lshlrev_b32_e32 v10, v10, v15
	v_mul_f16_sdwa v6, v6, v17 dst_sel:DWORD dst_unused:UNUSED_PAD src0_sel:DWORD src1_sel:WORD_1
	v_cmp_ne_u32_e32 vcc, v10, v5
	v_fma_f16 v6, v17, v11, -v6
	v_cndmask_b32_e64 v5, 0, 1, vcc
	v_add_u32_e32 v9, 0xfffffc10, v9
	v_cvt_f32_f16_e32 v6, v6
	v_or_b32_e32 v5, v15, v5
	v_lshl_or_b32 v10, v9, 12, v7
	v_cmp_gt_i32_e32 vcc, 1, v9
	v_cndmask_b32_e32 v5, v10, v5, vcc
	v_and_b32_e32 v10, 7, v5
	v_cmp_lt_i32_e32 vcc, 5, v10
	v_cmp_eq_u32_e64 s[0:1], 3, v10
	v_lshrrev_b32_e32 v10, 2, v5
	v_cvt_f64_f32_e32 v[5:6], v6
	s_or_b64 vcc, s[0:1], vcc
	v_addc_co_u32_e32 v10, vcc, 0, v10, vcc
	v_mul_f64 v[5:6], v[5:6], s[6:7]
	v_cmp_gt_i32_e32 vcc, 31, v9
	v_cndmask_b32_e32 v10, v4, v10, vcc
	v_cmp_ne_u32_e32 vcc, 0, v7
	v_cndmask_b32_e64 v7, 0, 1, vcc
	v_lshl_or_b32 v7, v7, 9, v4
	v_cmp_eq_u32_e32 vcc, s17, v9
	v_cndmask_b32_e32 v7, v10, v7, vcc
	v_and_or_b32 v5, v6, s10, v5
	v_lshrrev_b32_e32 v8, 16, v8
	v_cmp_ne_u32_e32 vcc, 0, v5
	v_and_or_b32 v11, v8, s18, v7
	v_cndmask_b32_e64 v5, 0, 1, vcc
	v_lshrrev_b32_e32 v7, 8, v6
	v_bfe_u32 v8, v6, 20, 11
	v_and_or_b32 v5, v7, s16, v5
	v_sub_u32_e32 v9, 0x3f1, v8
	v_or_b32_e32 v7, 0x1000, v5
	v_med3_i32 v9, v9, 0, 13
	v_lshrrev_b32_e32 v10, v9, v7
	v_lshlrev_b32_e32 v9, v9, v10
	v_cmp_ne_u32_e32 vcc, v9, v7
	v_cndmask_b32_e64 v7, 0, 1, vcc
	v_add_u32_e32 v9, 0xfffffc10, v8
	v_or_b32_e32 v7, v10, v7
	v_lshl_or_b32 v8, v9, 12, v5
	v_cmp_gt_i32_e32 vcc, 1, v9
	v_cndmask_b32_e32 v7, v8, v7, vcc
	v_and_b32_e32 v8, 7, v7
	v_cmp_lt_i32_e32 vcc, 5, v8
	v_cmp_eq_u32_e64 s[0:1], 3, v8
	v_lshrrev_b32_e32 v7, 2, v7
	s_or_b64 vcc, s[0:1], vcc
	v_addc_co_u32_e32 v10, vcc, 0, v7, vcc
	v_add_u32_e32 v7, 0xc00, v29
	ds_read2_b32 v[7:8], v7 offset0:72 offset1:192
	v_cmp_gt_i32_e32 vcc, 31, v9
	v_cndmask_b32_e32 v10, v4, v10, vcc
	v_cmp_ne_u32_e32 vcc, 0, v5
	v_cndmask_b32_e64 v5, 0, 1, vcc
	s_waitcnt lgkmcnt(0)
	v_lshrrev_b32_e32 v15, 16, v7
	s_waitcnt vmcnt(3)
	v_mul_f16_sdwa v16, v15, v18 dst_sel:DWORD dst_unused:UNUSED_PAD src0_sel:DWORD src1_sel:WORD_1
	v_fma_f16 v16, v7, v18, v16
	v_cvt_f32_f16_e32 v16, v16
	v_lshl_or_b32 v5, v5, 9, v4
	v_cmp_eq_u32_e32 vcc, s17, v9
	v_cndmask_b32_e32 v5, v10, v5, vcc
	v_cvt_f64_f32_e32 v[9:10], v16
	v_lshrrev_b32_e32 v6, 16, v6
	v_and_or_b32 v16, v6, s18, v5
	v_add_co_u32_e32 v2, vcc, s3, v2
	v_mul_f64 v[5:6], v[9:10], s[6:7]
	v_mov_b32_e32 v10, s2
	v_and_b32_e32 v11, 0xffff, v11
	v_addc_co_u32_e32 v3, vcc, v3, v10, vcc
	v_lshl_or_b32 v9, v16, 16, v11
	global_store_dword v[2:3], v9, off
	v_mul_f16_sdwa v7, v7, v18 dst_sel:DWORD dst_unused:UNUSED_PAD src0_sel:DWORD src1_sel:WORD_1
	v_and_or_b32 v5, v6, s10, v5
	v_cmp_ne_u32_e32 vcc, 0, v5
	v_cndmask_b32_e64 v5, 0, 1, vcc
	v_lshrrev_b32_e32 v9, 8, v6
	v_bfe_u32 v10, v6, 20, 11
	v_and_or_b32 v5, v9, s16, v5
	v_sub_u32_e32 v11, 0x3f1, v10
	v_or_b32_e32 v9, 0x1000, v5
	v_med3_i32 v11, v11, 0, 13
	v_lshrrev_b32_e32 v16, v11, v9
	v_lshlrev_b32_e32 v11, v11, v16
	v_cmp_ne_u32_e32 vcc, v11, v9
	v_fma_f16 v7, v18, v15, -v7
	v_cndmask_b32_e64 v9, 0, 1, vcc
	v_add_u32_e32 v11, 0xfffffc10, v10
	v_cvt_f32_f16_e32 v7, v7
	v_or_b32_e32 v9, v16, v9
	v_lshl_or_b32 v10, v11, 12, v5
	v_cmp_gt_i32_e32 vcc, 1, v11
	v_cndmask_b32_e32 v9, v10, v9, vcc
	v_and_b32_e32 v10, 7, v9
	v_cmp_lt_i32_e32 vcc, 5, v10
	v_cmp_eq_u32_e64 s[0:1], 3, v10
	v_lshrrev_b32_e32 v15, 2, v9
	v_cvt_f64_f32_e32 v[9:10], v7
	s_or_b64 vcc, s[0:1], vcc
	v_addc_co_u32_e32 v7, vcc, 0, v15, vcc
	v_mul_f64 v[9:10], v[9:10], s[6:7]
	v_cmp_gt_i32_e32 vcc, 31, v11
	v_cndmask_b32_e32 v7, v4, v7, vcc
	v_cmp_ne_u32_e32 vcc, 0, v5
	v_cndmask_b32_e64 v5, 0, 1, vcc
	v_lshl_or_b32 v5, v5, 9, v4
	v_cmp_eq_u32_e32 vcc, s17, v11
	v_cndmask_b32_e32 v5, v7, v5, vcc
	v_lshrrev_b32_e32 v6, 16, v6
	v_and_or_b32 v7, v6, s18, v5
	v_and_or_b32 v5, v10, s10, v9
	v_cmp_ne_u32_e32 vcc, 0, v5
	v_cndmask_b32_e64 v5, 0, 1, vcc
	v_lshrrev_b32_e32 v6, 8, v10
	v_bfe_u32 v9, v10, 20, 11
	v_and_or_b32 v5, v6, s16, v5
	v_sub_u32_e32 v11, 0x3f1, v9
	v_or_b32_e32 v6, 0x1000, v5
	v_med3_i32 v11, v11, 0, 13
	v_lshrrev_b32_e32 v15, v11, v6
	v_lshlrev_b32_e32 v11, v11, v15
	v_cmp_ne_u32_e32 vcc, v11, v6
	v_cndmask_b32_e64 v6, 0, 1, vcc
	v_add_u32_e32 v9, 0xfffffc10, v9
	v_or_b32_e32 v6, v15, v6
	v_lshl_or_b32 v11, v9, 12, v5
	v_cmp_gt_i32_e32 vcc, 1, v9
	v_cndmask_b32_e32 v6, v11, v6, vcc
	v_and_b32_e32 v11, 7, v6
	v_cmp_lt_i32_e32 vcc, 5, v11
	v_cmp_eq_u32_e64 s[0:1], 3, v11
	v_lshrrev_b32_e32 v11, 16, v8
	v_lshrrev_b32_e32 v6, 2, v6
	s_or_b64 vcc, s[0:1], vcc
	s_waitcnt vmcnt(3)
	v_mul_f16_sdwa v15, v11, v19 dst_sel:DWORD dst_unused:UNUSED_PAD src0_sel:DWORD src1_sel:WORD_1
	v_addc_co_u32_e32 v6, vcc, 0, v6, vcc
	v_fma_f16 v15, v8, v19, v15
	v_cmp_gt_i32_e32 vcc, 31, v9
	v_cvt_f32_f16_e32 v15, v15
	v_cndmask_b32_e32 v6, v4, v6, vcc
	v_cmp_ne_u32_e32 vcc, 0, v5
	v_cndmask_b32_e64 v5, 0, 1, vcc
	v_lshl_or_b32 v5, v5, 9, v4
	v_cmp_eq_u32_e32 vcc, s17, v9
	v_cndmask_b32_e32 v9, v6, v5, vcc
	v_cvt_f64_f32_e32 v[5:6], v15
	v_lshrrev_b32_e32 v10, 16, v10
	v_and_or_b32 v9, v10, s18, v9
	v_and_b32_e32 v7, 0xffff, v7
	v_mul_f64 v[5:6], v[5:6], s[6:7]
	v_lshl_or_b32 v7, v9, 16, v7
	v_mov_b32_e32 v9, s2
	v_add_co_u32_e32 v2, vcc, s3, v2
	v_addc_co_u32_e32 v3, vcc, v3, v9, vcc
	global_store_dword v[2:3], v7, off
	v_and_or_b32 v5, v6, s10, v5
	v_cmp_ne_u32_e32 vcc, 0, v5
	v_cndmask_b32_e64 v5, 0, 1, vcc
	v_lshrrev_b32_e32 v7, 8, v6
	v_bfe_u32 v9, v6, 20, 11
	v_and_or_b32 v5, v7, s16, v5
	v_sub_u32_e32 v10, 0x3f1, v9
	v_or_b32_e32 v7, 0x1000, v5
	v_med3_i32 v10, v10, 0, 13
	v_lshrrev_b32_e32 v15, v10, v7
	v_lshlrev_b32_e32 v10, v10, v15
	v_mul_f16_sdwa v8, v8, v19 dst_sel:DWORD dst_unused:UNUSED_PAD src0_sel:DWORD src1_sel:WORD_1
	v_cmp_ne_u32_e32 vcc, v10, v7
	v_fma_f16 v8, v19, v11, -v8
	v_cndmask_b32_e64 v7, 0, 1, vcc
	v_add_u32_e32 v9, 0xfffffc10, v9
	v_cvt_f32_f16_e32 v8, v8
	v_or_b32_e32 v7, v15, v7
	v_lshl_or_b32 v10, v9, 12, v5
	v_cmp_gt_i32_e32 vcc, 1, v9
	v_cndmask_b32_e32 v7, v10, v7, vcc
	v_and_b32_e32 v10, 7, v7
	v_cmp_lt_i32_e32 vcc, 5, v10
	v_cmp_eq_u32_e64 s[0:1], 3, v10
	v_lshrrev_b32_e32 v10, 2, v7
	v_cvt_f64_f32_e32 v[7:8], v8
	s_or_b64 vcc, s[0:1], vcc
	v_addc_co_u32_e32 v10, vcc, 0, v10, vcc
	v_mul_f64 v[7:8], v[7:8], s[6:7]
	v_cmp_gt_i32_e32 vcc, 31, v9
	v_cndmask_b32_e32 v10, v4, v10, vcc
	v_cmp_ne_u32_e32 vcc, 0, v5
	v_cndmask_b32_e64 v5, 0, 1, vcc
	v_lshl_or_b32 v5, v5, 9, v4
	v_cmp_eq_u32_e32 vcc, s17, v9
	v_cndmask_b32_e32 v5, v10, v5, vcc
	v_lshrrev_b32_e32 v6, 16, v6
	v_and_or_b32 v11, v6, s18, v5
	v_and_or_b32 v5, v8, s10, v7
	v_cmp_ne_u32_e32 vcc, 0, v5
	v_cndmask_b32_e64 v5, 0, 1, vcc
	v_lshrrev_b32_e32 v6, 8, v8
	v_and_or_b32 v7, v6, s16, v5
	v_bfe_u32 v6, v8, 20, 11
	v_sub_u32_e32 v9, 0x3f1, v6
	v_or_b32_e32 v5, 0x1000, v7
	v_med3_i32 v9, v9, 0, 13
	v_lshrrev_b32_e32 v10, v9, v5
	v_lshlrev_b32_e32 v9, v9, v10
	v_cmp_ne_u32_e32 vcc, v9, v5
	v_cndmask_b32_e64 v5, 0, 1, vcc
	v_add_u32_e32 v9, 0xfffffc10, v6
	v_or_b32_e32 v5, v10, v5
	v_lshl_or_b32 v6, v9, 12, v7
	v_cmp_gt_i32_e32 vcc, 1, v9
	v_cndmask_b32_e32 v5, v6, v5, vcc
	v_and_b32_e32 v6, 7, v5
	v_cmp_lt_i32_e32 vcc, 5, v6
	v_cmp_eq_u32_e64 s[0:1], 3, v6
	v_lshrrev_b32_e32 v5, 2, v5
	s_or_b64 vcc, s[0:1], vcc
	v_addc_co_u32_e32 v10, vcc, 0, v5, vcc
	v_add_u32_e32 v5, 0x1000, v29
	ds_read2_b32 v[5:6], v5 offset0:56 offset1:176
	v_cmp_gt_i32_e32 vcc, 31, v9
	v_cndmask_b32_e32 v10, v4, v10, vcc
	v_cmp_ne_u32_e32 vcc, 0, v7
	v_cndmask_b32_e64 v7, 0, 1, vcc
	s_waitcnt lgkmcnt(0)
	v_lshrrev_b32_e32 v15, 16, v5
	v_mul_f16_sdwa v16, v15, v13 dst_sel:DWORD dst_unused:UNUSED_PAD src0_sel:DWORD src1_sel:WORD_1
	v_fma_f16 v16, v5, v13, v16
	v_cvt_f32_f16_e32 v16, v16
	v_lshl_or_b32 v7, v7, 9, v4
	v_cmp_eq_u32_e32 vcc, s17, v9
	v_cndmask_b32_e32 v7, v10, v7, vcc
	v_cvt_f64_f32_e32 v[9:10], v16
	v_lshrrev_b32_e32 v8, 16, v8
	v_and_or_b32 v16, v8, s18, v7
	v_add_co_u32_e32 v2, vcc, s3, v2
	v_mul_f64 v[7:8], v[9:10], s[6:7]
	v_mov_b32_e32 v10, s2
	v_and_b32_e32 v11, 0xffff, v11
	v_addc_co_u32_e32 v3, vcc, v3, v10, vcc
	v_lshl_or_b32 v9, v16, 16, v11
	global_store_dword v[2:3], v9, off
	v_mul_f16_sdwa v5, v5, v13 dst_sel:DWORD dst_unused:UNUSED_PAD src0_sel:DWORD src1_sel:WORD_1
	v_and_or_b32 v7, v8, s10, v7
	v_cmp_ne_u32_e32 vcc, 0, v7
	v_cndmask_b32_e64 v7, 0, 1, vcc
	v_lshrrev_b32_e32 v9, 8, v8
	v_bfe_u32 v10, v8, 20, 11
	v_and_or_b32 v7, v9, s16, v7
	v_sub_u32_e32 v11, 0x3f1, v10
	v_or_b32_e32 v9, 0x1000, v7
	v_med3_i32 v11, v11, 0, 13
	v_lshrrev_b32_e32 v16, v11, v9
	v_lshlrev_b32_e32 v11, v11, v16
	v_cmp_ne_u32_e32 vcc, v11, v9
	v_fma_f16 v5, v13, v15, -v5
	v_cndmask_b32_e64 v9, 0, 1, vcc
	v_add_u32_e32 v11, 0xfffffc10, v10
	v_cvt_f32_f16_e32 v5, v5
	v_or_b32_e32 v9, v16, v9
	v_lshl_or_b32 v10, v11, 12, v7
	v_cmp_gt_i32_e32 vcc, 1, v11
	v_cndmask_b32_e32 v9, v10, v9, vcc
	v_and_b32_e32 v10, 7, v9
	v_cmp_lt_i32_e32 vcc, 5, v10
	v_cmp_eq_u32_e64 s[0:1], 3, v10
	v_lshrrev_b32_e32 v13, 2, v9
	v_cvt_f64_f32_e32 v[9:10], v5
	s_or_b64 vcc, s[0:1], vcc
	v_addc_co_u32_e32 v5, vcc, 0, v13, vcc
	v_mul_f64 v[9:10], v[9:10], s[6:7]
	v_cmp_gt_i32_e32 vcc, 31, v11
	v_cndmask_b32_e32 v5, v4, v5, vcc
	v_cmp_ne_u32_e32 vcc, 0, v7
	v_cndmask_b32_e64 v7, 0, 1, vcc
	v_lshl_or_b32 v7, v7, 9, v4
	v_cmp_eq_u32_e32 vcc, s17, v11
	v_cndmask_b32_e32 v5, v5, v7, vcc
	v_lshrrev_b32_e32 v7, 16, v8
	v_and_or_b32 v5, v7, s18, v5
	v_and_or_b32 v7, v10, s10, v9
	v_cmp_ne_u32_e32 vcc, 0, v7
	v_cndmask_b32_e64 v7, 0, 1, vcc
	v_lshrrev_b32_e32 v8, 8, v10
	v_bfe_u32 v9, v10, 20, 11
	v_and_or_b32 v7, v8, s16, v7
	v_sub_u32_e32 v11, 0x3f1, v9
	v_or_b32_e32 v8, 0x1000, v7
	v_med3_i32 v11, v11, 0, 13
	v_lshrrev_b32_e32 v13, v11, v8
	v_lshlrev_b32_e32 v11, v11, v13
	v_cmp_ne_u32_e32 vcc, v11, v8
	v_cndmask_b32_e64 v8, 0, 1, vcc
	v_add_u32_e32 v9, 0xfffffc10, v9
	v_or_b32_e32 v8, v13, v8
	v_lshl_or_b32 v11, v9, 12, v7
	v_cmp_gt_i32_e32 vcc, 1, v9
	v_cndmask_b32_e32 v8, v11, v8, vcc
	v_and_b32_e32 v11, 7, v8
	v_cmp_lt_i32_e32 vcc, 5, v11
	v_cmp_eq_u32_e64 s[0:1], 3, v11
	v_lshrrev_b32_e32 v11, 16, v6
	v_lshrrev_b32_e32 v8, 2, v8
	s_or_b64 vcc, s[0:1], vcc
	v_mul_f16_sdwa v13, v11, v14 dst_sel:DWORD dst_unused:UNUSED_PAD src0_sel:DWORD src1_sel:WORD_1
	v_addc_co_u32_e32 v8, vcc, 0, v8, vcc
	v_fma_f16 v13, v6, v14, v13
	v_cmp_gt_i32_e32 vcc, 31, v9
	v_cvt_f32_f16_e32 v13, v13
	v_cndmask_b32_e32 v8, v4, v8, vcc
	v_cmp_ne_u32_e32 vcc, 0, v7
	v_cndmask_b32_e64 v7, 0, 1, vcc
	v_lshl_or_b32 v7, v7, 9, v4
	v_cmp_eq_u32_e32 vcc, s17, v9
	v_cndmask_b32_e32 v9, v8, v7, vcc
	v_cvt_f64_f32_e32 v[7:8], v13
	v_lshrrev_b32_e32 v10, 16, v10
	v_and_or_b32 v9, v10, s18, v9
	v_and_b32_e32 v5, 0xffff, v5
	v_mul_f64 v[7:8], v[7:8], s[6:7]
	v_lshl_or_b32 v5, v9, 16, v5
	v_mov_b32_e32 v9, s2
	v_add_co_u32_e32 v2, vcc, s3, v2
	v_addc_co_u32_e32 v3, vcc, v3, v9, vcc
	global_store_dword v[2:3], v5, off
	v_and_or_b32 v5, v8, s10, v7
	v_cmp_ne_u32_e32 vcc, 0, v5
	v_cndmask_b32_e64 v5, 0, 1, vcc
	v_lshrrev_b32_e32 v7, 8, v8
	v_bfe_u32 v9, v8, 20, 11
	v_and_or_b32 v7, v7, s16, v5
	v_sub_u32_e32 v10, 0x3f1, v9
	v_or_b32_e32 v5, 0x1000, v7
	v_med3_i32 v10, v10, 0, 13
	v_lshrrev_b32_e32 v13, v10, v5
	v_lshlrev_b32_e32 v10, v10, v13
	v_mul_f16_sdwa v6, v6, v14 dst_sel:DWORD dst_unused:UNUSED_PAD src0_sel:DWORD src1_sel:WORD_1
	v_cmp_ne_u32_e32 vcc, v10, v5
	v_fma_f16 v6, v14, v11, -v6
	v_cndmask_b32_e64 v5, 0, 1, vcc
	v_add_u32_e32 v9, 0xfffffc10, v9
	v_cvt_f32_f16_e32 v6, v6
	v_or_b32_e32 v5, v13, v5
	v_lshl_or_b32 v10, v9, 12, v7
	v_cmp_gt_i32_e32 vcc, 1, v9
	v_cndmask_b32_e32 v5, v10, v5, vcc
	v_and_b32_e32 v10, 7, v5
	v_cmp_lt_i32_e32 vcc, 5, v10
	v_cmp_eq_u32_e64 s[0:1], 3, v10
	v_lshrrev_b32_e32 v10, 2, v5
	v_cvt_f64_f32_e32 v[5:6], v6
	s_or_b64 vcc, s[0:1], vcc
	v_addc_co_u32_e32 v10, vcc, 0, v10, vcc
	v_mul_f64 v[5:6], v[5:6], s[6:7]
	v_cmp_gt_i32_e32 vcc, 31, v9
	v_cndmask_b32_e32 v10, v4, v10, vcc
	v_cmp_ne_u32_e32 vcc, 0, v7
	v_cndmask_b32_e64 v7, 0, 1, vcc
	v_lshl_or_b32 v7, v7, 9, v4
	v_cmp_eq_u32_e32 vcc, s17, v9
	v_cndmask_b32_e32 v7, v10, v7, vcc
	v_and_or_b32 v5, v6, s10, v5
	v_lshrrev_b32_e32 v8, 16, v8
	v_cmp_ne_u32_e32 vcc, 0, v5
	v_and_or_b32 v11, v8, s18, v7
	v_cndmask_b32_e64 v5, 0, 1, vcc
	v_lshrrev_b32_e32 v7, 8, v6
	v_bfe_u32 v8, v6, 20, 11
	v_and_or_b32 v5, v7, s16, v5
	v_sub_u32_e32 v9, 0x3f1, v8
	v_or_b32_e32 v7, 0x1000, v5
	v_med3_i32 v9, v9, 0, 13
	v_lshrrev_b32_e32 v10, v9, v7
	v_lshlrev_b32_e32 v9, v9, v10
	v_cmp_ne_u32_e32 vcc, v9, v7
	v_cndmask_b32_e64 v7, 0, 1, vcc
	v_add_u32_e32 v9, 0xfffffc10, v8
	v_or_b32_e32 v7, v10, v7
	v_lshl_or_b32 v8, v9, 12, v5
	v_cmp_gt_i32_e32 vcc, 1, v9
	v_cndmask_b32_e32 v7, v8, v7, vcc
	v_and_b32_e32 v8, 7, v7
	v_cmp_lt_i32_e32 vcc, 5, v8
	v_cmp_eq_u32_e64 s[0:1], 3, v8
	v_lshrrev_b32_e32 v7, 2, v7
	s_or_b64 vcc, s[0:1], vcc
	v_addc_co_u32_e32 v10, vcc, 0, v7, vcc
	v_add_u32_e32 v7, 0x1400, v29
	ds_read2_b32 v[7:8], v7 offset0:40 offset1:160
	v_cmp_gt_i32_e32 vcc, 31, v9
	v_cndmask_b32_e32 v10, v4, v10, vcc
	v_cmp_ne_u32_e32 vcc, 0, v5
	v_cndmask_b32_e64 v5, 0, 1, vcc
	s_waitcnt lgkmcnt(0)
	v_lshrrev_b32_e32 v13, 16, v7
	v_mul_f16_sdwa v14, v13, v12 dst_sel:DWORD dst_unused:UNUSED_PAD src0_sel:DWORD src1_sel:WORD_1
	v_fma_f16 v14, v7, v12, v14
	v_cvt_f32_f16_e32 v14, v14
	v_lshl_or_b32 v5, v5, 9, v4
	v_cmp_eq_u32_e32 vcc, s17, v9
	v_cndmask_b32_e32 v5, v10, v5, vcc
	v_cvt_f64_f32_e32 v[9:10], v14
	v_lshrrev_b32_e32 v6, 16, v6
	v_and_or_b32 v14, v6, s18, v5
	v_add_co_u32_e32 v2, vcc, s3, v2
	v_mul_f64 v[5:6], v[9:10], s[6:7]
	v_mov_b32_e32 v10, s2
	v_and_b32_e32 v11, 0xffff, v11
	v_addc_co_u32_e32 v3, vcc, v3, v10, vcc
	v_lshl_or_b32 v9, v14, 16, v11
	global_store_dword v[2:3], v9, off
	v_mul_f16_sdwa v7, v7, v12 dst_sel:DWORD dst_unused:UNUSED_PAD src0_sel:DWORD src1_sel:WORD_1
	v_and_or_b32 v5, v6, s10, v5
	v_cmp_ne_u32_e32 vcc, 0, v5
	v_cndmask_b32_e64 v5, 0, 1, vcc
	v_lshrrev_b32_e32 v9, 8, v6
	v_bfe_u32 v10, v6, 20, 11
	v_and_or_b32 v5, v9, s16, v5
	v_sub_u32_e32 v11, 0x3f1, v10
	v_or_b32_e32 v9, 0x1000, v5
	v_med3_i32 v11, v11, 0, 13
	v_lshrrev_b32_e32 v14, v11, v9
	v_lshlrev_b32_e32 v11, v11, v14
	v_cmp_ne_u32_e32 vcc, v11, v9
	v_fma_f16 v7, v12, v13, -v7
	v_cndmask_b32_e64 v9, 0, 1, vcc
	v_add_u32_e32 v11, 0xfffffc10, v10
	v_cvt_f32_f16_e32 v7, v7
	v_or_b32_e32 v9, v14, v9
	v_lshl_or_b32 v10, v11, 12, v5
	v_cmp_gt_i32_e32 vcc, 1, v11
	v_cndmask_b32_e32 v9, v10, v9, vcc
	v_and_b32_e32 v10, 7, v9
	v_cmp_lt_i32_e32 vcc, 5, v10
	v_cmp_eq_u32_e64 s[0:1], 3, v10
	v_lshrrev_b32_e32 v12, 2, v9
	v_cvt_f64_f32_e32 v[9:10], v7
	s_or_b64 vcc, s[0:1], vcc
	v_addc_co_u32_e32 v7, vcc, 0, v12, vcc
	v_mul_f64 v[9:10], v[9:10], s[6:7]
	v_cmp_gt_i32_e32 vcc, 31, v11
	v_cndmask_b32_e32 v7, v4, v7, vcc
	v_cmp_ne_u32_e32 vcc, 0, v5
	v_cndmask_b32_e64 v5, 0, 1, vcc
	v_lshl_or_b32 v5, v5, 9, v4
	v_cmp_eq_u32_e32 vcc, s17, v11
	v_cndmask_b32_e32 v5, v7, v5, vcc
	v_lshrrev_b32_e32 v6, 16, v6
	v_and_or_b32 v5, v6, s18, v5
	v_and_or_b32 v6, v10, s10, v9
	v_cmp_ne_u32_e32 vcc, 0, v6
	v_cndmask_b32_e64 v6, 0, 1, vcc
	v_lshrrev_b32_e32 v7, 8, v10
	v_bfe_u32 v9, v10, 20, 11
	v_and_or_b32 v6, v7, s16, v6
	v_sub_u32_e32 v11, 0x3f1, v9
	v_or_b32_e32 v7, 0x1000, v6
	v_med3_i32 v11, v11, 0, 13
	v_lshrrev_b32_e32 v12, v11, v7
	v_lshlrev_b32_e32 v11, v11, v12
	v_cmp_ne_u32_e32 vcc, v11, v7
	v_cndmask_b32_e64 v7, 0, 1, vcc
	v_add_u32_e32 v9, 0xfffffc10, v9
	v_or_b32_e32 v7, v12, v7
	v_lshl_or_b32 v11, v9, 12, v6
	v_cmp_gt_i32_e32 vcc, 1, v9
	v_cndmask_b32_e32 v7, v11, v7, vcc
	v_and_b32_e32 v11, 7, v7
	v_cmp_lt_i32_e32 vcc, 5, v11
	v_cmp_eq_u32_e64 s[0:1], 3, v11
	v_lshrrev_b32_e32 v7, 2, v7
	s_or_b64 vcc, s[0:1], vcc
	v_addc_co_u32_e32 v7, vcc, 0, v7, vcc
	v_cmp_gt_i32_e32 vcc, 31, v9
	v_cndmask_b32_e32 v7, v4, v7, vcc
	v_cmp_ne_u32_e32 vcc, 0, v6
	v_cndmask_b32_e64 v6, 0, 1, vcc
	v_lshl_or_b32 v6, v6, 9, v4
	v_cmp_eq_u32_e32 vcc, s17, v9
	v_cndmask_b32_e32 v6, v7, v6, vcc
	v_lshrrev_b32_e32 v7, 16, v10
	v_and_or_b32 v6, v7, s18, v6
	v_and_b32_e32 v5, 0xffff, v5
	v_lshl_or_b32 v5, v6, 16, v5
	v_mov_b32_e32 v6, s2
	v_add_co_u32_e32 v2, vcc, s3, v2
	v_addc_co_u32_e32 v3, vcc, v3, v6, vcc
	global_store_dword v[2:3], v5, off
	global_load_dword v5, v[0:1], off offset:1664
	v_lshrrev_b32_e32 v6, 16, v8
	s_waitcnt vmcnt(0)
	v_mul_f16_sdwa v0, v6, v5 dst_sel:DWORD dst_unused:UNUSED_PAD src0_sel:DWORD src1_sel:WORD_1
	v_fma_f16 v0, v8, v5, v0
	v_cvt_f32_f16_e32 v0, v0
	v_mul_f16_sdwa v8, v8, v5 dst_sel:DWORD dst_unused:UNUSED_PAD src0_sel:DWORD src1_sel:WORD_1
	v_fma_f16 v5, v5, v6, -v8
	v_cvt_f32_f16_e32 v5, v5
	v_cvt_f64_f32_e32 v[0:1], v0
	v_cvt_f64_f32_e32 v[5:6], v5
	v_mul_f64 v[0:1], v[0:1], s[6:7]
	v_mul_f64 v[5:6], v[5:6], s[6:7]
	v_and_or_b32 v0, v1, s10, v0
	v_cmp_ne_u32_e32 vcc, 0, v0
	v_cndmask_b32_e64 v0, 0, 1, vcc
	v_lshrrev_b32_e32 v7, 8, v1
	v_bfe_u32 v9, v1, 20, 11
	v_and_or_b32 v0, v7, s16, v0
	v_sub_u32_e32 v10, 0x3f1, v9
	v_or_b32_e32 v7, 0x1000, v0
	v_med3_i32 v10, v10, 0, 13
	v_lshrrev_b32_e32 v11, v10, v7
	v_lshlrev_b32_e32 v10, v10, v11
	v_cmp_ne_u32_e32 vcc, v10, v7
	v_cndmask_b32_e64 v7, 0, 1, vcc
	v_add_u32_e32 v9, 0xfffffc10, v9
	v_or_b32_e32 v7, v11, v7
	v_lshl_or_b32 v10, v9, 12, v0
	v_cmp_gt_i32_e32 vcc, 1, v9
	v_cndmask_b32_e32 v7, v10, v7, vcc
	v_and_b32_e32 v10, 7, v7
	v_cmp_lt_i32_e32 vcc, 5, v10
	v_cmp_eq_u32_e64 s[0:1], 3, v10
	v_lshrrev_b32_e32 v7, 2, v7
	s_or_b64 vcc, s[0:1], vcc
	v_addc_co_u32_e32 v7, vcc, 0, v7, vcc
	v_cmp_gt_i32_e32 vcc, 31, v9
	v_cndmask_b32_e32 v7, v4, v7, vcc
	v_cmp_ne_u32_e32 vcc, 0, v0
	v_cndmask_b32_e64 v0, 0, 1, vcc
	v_lshl_or_b32 v0, v0, 9, v4
	v_cmp_eq_u32_e32 vcc, s17, v9
	v_cndmask_b32_e32 v0, v7, v0, vcc
	v_lshrrev_b32_e32 v1, 16, v1
	v_and_or_b32 v0, v1, s18, v0
	v_and_or_b32 v1, v6, s10, v5
	v_cmp_ne_u32_e32 vcc, 0, v1
	v_cndmask_b32_e64 v1, 0, 1, vcc
	v_lshrrev_b32_e32 v5, 8, v6
	v_bfe_u32 v7, v6, 20, 11
	v_and_or_b32 v1, v5, s16, v1
	v_sub_u32_e32 v8, 0x3f1, v7
	v_or_b32_e32 v5, 0x1000, v1
	v_med3_i32 v8, v8, 0, 13
	v_lshrrev_b32_e32 v9, v8, v5
	v_lshlrev_b32_e32 v8, v8, v9
	v_cmp_ne_u32_e32 vcc, v8, v5
	v_cndmask_b32_e64 v5, 0, 1, vcc
	v_add_u32_e32 v7, 0xfffffc10, v7
	v_or_b32_e32 v5, v9, v5
	v_lshl_or_b32 v8, v7, 12, v1
	v_cmp_gt_i32_e32 vcc, 1, v7
	v_cndmask_b32_e32 v5, v8, v5, vcc
	v_and_b32_e32 v8, 7, v5
	v_cmp_lt_i32_e32 vcc, 5, v8
	v_cmp_eq_u32_e64 s[0:1], 3, v8
	v_lshrrev_b32_e32 v5, 2, v5
	s_or_b64 vcc, s[0:1], vcc
	v_addc_co_u32_e32 v5, vcc, 0, v5, vcc
	v_cmp_gt_i32_e32 vcc, 31, v7
	v_cndmask_b32_e32 v5, v4, v5, vcc
	v_cmp_ne_u32_e32 vcc, 0, v1
	v_cndmask_b32_e64 v1, 0, 1, vcc
	v_lshl_or_b32 v1, v1, 9, v4
	v_cmp_eq_u32_e32 vcc, s17, v7
	v_cndmask_b32_e32 v1, v5, v1, vcc
	v_lshrrev_b32_e32 v4, 16, v6
	v_and_or_b32 v1, v4, s18, v1
	v_and_b32_e32 v0, 0xffff, v0
	v_lshl_or_b32 v4, v1, 16, v0
	v_mov_b32_e32 v1, s2
	v_add_co_u32_e32 v0, vcc, s3, v2
	v_addc_co_u32_e32 v1, vcc, v3, v1, vcc
	global_store_dword v[0:1], v4, off
.LBB0_23:
	s_endpgm
	.section	.rodata,"a",@progbits
	.p2align	6, 0x0
	.amdhsa_kernel bluestein_single_back_len1560_dim1_half_op_CI_CI
		.amdhsa_group_segment_fixed_size 6240
		.amdhsa_private_segment_fixed_size 0
		.amdhsa_kernarg_size 104
		.amdhsa_user_sgpr_count 6
		.amdhsa_user_sgpr_private_segment_buffer 1
		.amdhsa_user_sgpr_dispatch_ptr 0
		.amdhsa_user_sgpr_queue_ptr 0
		.amdhsa_user_sgpr_kernarg_segment_ptr 1
		.amdhsa_user_sgpr_dispatch_id 0
		.amdhsa_user_sgpr_flat_scratch_init 0
		.amdhsa_user_sgpr_private_segment_size 0
		.amdhsa_uses_dynamic_stack 0
		.amdhsa_system_sgpr_private_segment_wavefront_offset 0
		.amdhsa_system_sgpr_workgroup_id_x 1
		.amdhsa_system_sgpr_workgroup_id_y 0
		.amdhsa_system_sgpr_workgroup_id_z 0
		.amdhsa_system_sgpr_workgroup_info 0
		.amdhsa_system_vgpr_workitem_id 0
		.amdhsa_next_free_vgpr 164
		.amdhsa_next_free_sgpr 31
		.amdhsa_reserve_vcc 1
		.amdhsa_reserve_flat_scratch 0
		.amdhsa_float_round_mode_32 0
		.amdhsa_float_round_mode_16_64 0
		.amdhsa_float_denorm_mode_32 3
		.amdhsa_float_denorm_mode_16_64 3
		.amdhsa_dx10_clamp 1
		.amdhsa_ieee_mode 1
		.amdhsa_fp16_overflow 0
		.amdhsa_exception_fp_ieee_invalid_op 0
		.amdhsa_exception_fp_denorm_src 0
		.amdhsa_exception_fp_ieee_div_zero 0
		.amdhsa_exception_fp_ieee_overflow 0
		.amdhsa_exception_fp_ieee_underflow 0
		.amdhsa_exception_fp_ieee_inexact 0
		.amdhsa_exception_int_div_zero 0
	.end_amdhsa_kernel
	.text
.Lfunc_end0:
	.size	bluestein_single_back_len1560_dim1_half_op_CI_CI, .Lfunc_end0-bluestein_single_back_len1560_dim1_half_op_CI_CI
                                        ; -- End function
	.section	.AMDGPU.csdata,"",@progbits
; Kernel info:
; codeLenInByte = 22696
; NumSgprs: 35
; NumVgprs: 164
; ScratchSize: 0
; MemoryBound: 0
; FloatMode: 240
; IeeeMode: 1
; LDSByteSize: 6240 bytes/workgroup (compile time only)
; SGPRBlocks: 4
; VGPRBlocks: 40
; NumSGPRsForWavesPerEU: 35
; NumVGPRsForWavesPerEU: 164
; Occupancy: 1
; WaveLimiterHint : 1
; COMPUTE_PGM_RSRC2:SCRATCH_EN: 0
; COMPUTE_PGM_RSRC2:USER_SGPR: 6
; COMPUTE_PGM_RSRC2:TRAP_HANDLER: 0
; COMPUTE_PGM_RSRC2:TGID_X_EN: 1
; COMPUTE_PGM_RSRC2:TGID_Y_EN: 0
; COMPUTE_PGM_RSRC2:TGID_Z_EN: 0
; COMPUTE_PGM_RSRC2:TIDIG_COMP_CNT: 0
	.type	__hip_cuid_d123161c64b3dda9,@object ; @__hip_cuid_d123161c64b3dda9
	.section	.bss,"aw",@nobits
	.globl	__hip_cuid_d123161c64b3dda9
__hip_cuid_d123161c64b3dda9:
	.byte	0                               ; 0x0
	.size	__hip_cuid_d123161c64b3dda9, 1

	.ident	"AMD clang version 19.0.0git (https://github.com/RadeonOpenCompute/llvm-project roc-6.4.0 25133 c7fe45cf4b819c5991fe208aaa96edf142730f1d)"
	.section	".note.GNU-stack","",@progbits
	.addrsig
	.addrsig_sym __hip_cuid_d123161c64b3dda9
	.amdgpu_metadata
---
amdhsa.kernels:
  - .args:
      - .actual_access:  read_only
        .address_space:  global
        .offset:         0
        .size:           8
        .value_kind:     global_buffer
      - .actual_access:  read_only
        .address_space:  global
        .offset:         8
        .size:           8
        .value_kind:     global_buffer
      - .actual_access:  read_only
        .address_space:  global
        .offset:         16
        .size:           8
        .value_kind:     global_buffer
      - .actual_access:  read_only
        .address_space:  global
        .offset:         24
        .size:           8
        .value_kind:     global_buffer
      - .actual_access:  read_only
        .address_space:  global
        .offset:         32
        .size:           8
        .value_kind:     global_buffer
      - .offset:         40
        .size:           8
        .value_kind:     by_value
      - .address_space:  global
        .offset:         48
        .size:           8
        .value_kind:     global_buffer
      - .address_space:  global
        .offset:         56
        .size:           8
        .value_kind:     global_buffer
      - .address_space:  global
        .offset:         64
        .size:           8
        .value_kind:     global_buffer
      - .address_space:  global
        .offset:         72
        .size:           8
        .value_kind:     global_buffer
      - .offset:         80
        .size:           4
        .value_kind:     by_value
      - .address_space:  global
        .offset:         88
        .size:           8
        .value_kind:     global_buffer
      - .address_space:  global
        .offset:         96
        .size:           8
        .value_kind:     global_buffer
    .group_segment_fixed_size: 6240
    .kernarg_segment_align: 8
    .kernarg_segment_size: 104
    .language:       OpenCL C
    .language_version:
      - 2
      - 0
    .max_flat_workgroup_size: 156
    .name:           bluestein_single_back_len1560_dim1_half_op_CI_CI
    .private_segment_fixed_size: 0
    .sgpr_count:     35
    .sgpr_spill_count: 0
    .symbol:         bluestein_single_back_len1560_dim1_half_op_CI_CI.kd
    .uniform_work_group_size: 1
    .uses_dynamic_stack: false
    .vgpr_count:     164
    .vgpr_spill_count: 0
    .wavefront_size: 64
amdhsa.target:   amdgcn-amd-amdhsa--gfx906
amdhsa.version:
  - 1
  - 2
...

	.end_amdgpu_metadata
